;; amdgpu-corpus repo=ROCm/rocFFT kind=compiled arch=gfx1030 opt=O3
	.text
	.amdgcn_target "amdgcn-amd-amdhsa--gfx1030"
	.amdhsa_code_object_version 6
	.protected	fft_rtc_fwd_len2002_factors_2_13_7_11_wgs_182_tpt_182_halfLds_dp_ip_CI_sbrr_dirReg ; -- Begin function fft_rtc_fwd_len2002_factors_2_13_7_11_wgs_182_tpt_182_halfLds_dp_ip_CI_sbrr_dirReg
	.globl	fft_rtc_fwd_len2002_factors_2_13_7_11_wgs_182_tpt_182_halfLds_dp_ip_CI_sbrr_dirReg
	.p2align	8
	.type	fft_rtc_fwd_len2002_factors_2_13_7_11_wgs_182_tpt_182_halfLds_dp_ip_CI_sbrr_dirReg,@function
fft_rtc_fwd_len2002_factors_2_13_7_11_wgs_182_tpt_182_halfLds_dp_ip_CI_sbrr_dirReg: ; @fft_rtc_fwd_len2002_factors_2_13_7_11_wgs_182_tpt_182_halfLds_dp_ip_CI_sbrr_dirReg
; %bb.0:
	s_clause 0x2
	s_load_dwordx2 s[14:15], s[4:5], 0x18
	s_load_dwordx4 s[8:11], s[4:5], 0x0
	s_load_dwordx2 s[12:13], s[4:5], 0x50
	v_mul_u32_u24_e32 v1, 0x169, v0
	v_mov_b32_e32 v3, 0
	v_add_nc_u32_sdwa v5, s6, v1 dst_sel:DWORD dst_unused:UNUSED_PAD src0_sel:DWORD src1_sel:WORD_1
	v_mov_b32_e32 v1, 0
	v_mov_b32_e32 v6, v3
	v_mov_b32_e32 v2, 0
	s_waitcnt lgkmcnt(0)
	s_load_dwordx2 s[2:3], s[14:15], 0x0
	v_cmp_lt_u64_e64 s0, s[10:11], 2
	s_and_b32 vcc_lo, exec_lo, s0
	s_cbranch_vccnz .LBB0_8
; %bb.1:
	s_load_dwordx2 s[0:1], s[4:5], 0x10
	v_mov_b32_e32 v1, 0
	s_add_u32 s6, s14, 8
	v_mov_b32_e32 v2, 0
	s_addc_u32 s7, s15, 0
	s_mov_b64 s[18:19], 1
	s_waitcnt lgkmcnt(0)
	s_add_u32 s16, s0, 8
	s_addc_u32 s17, s1, 0
.LBB0_2:                                ; =>This Inner Loop Header: Depth=1
	s_load_dwordx2 s[20:21], s[16:17], 0x0
                                        ; implicit-def: $vgpr7_vgpr8
	s_mov_b32 s0, exec_lo
	s_waitcnt lgkmcnt(0)
	v_or_b32_e32 v4, s21, v6
	v_cmpx_ne_u64_e32 0, v[3:4]
	s_xor_b32 s1, exec_lo, s0
	s_cbranch_execz .LBB0_4
; %bb.3:                                ;   in Loop: Header=BB0_2 Depth=1
	v_cvt_f32_u32_e32 v4, s20
	v_cvt_f32_u32_e32 v7, s21
	s_sub_u32 s0, 0, s20
	s_subb_u32 s22, 0, s21
	v_fmac_f32_e32 v4, 0x4f800000, v7
	v_rcp_f32_e32 v4, v4
	v_mul_f32_e32 v4, 0x5f7ffffc, v4
	v_mul_f32_e32 v7, 0x2f800000, v4
	v_trunc_f32_e32 v7, v7
	v_fmac_f32_e32 v4, 0xcf800000, v7
	v_cvt_u32_f32_e32 v7, v7
	v_cvt_u32_f32_e32 v4, v4
	v_mul_lo_u32 v8, s0, v7
	v_mul_hi_u32 v9, s0, v4
	v_mul_lo_u32 v10, s22, v4
	v_add_nc_u32_e32 v8, v9, v8
	v_mul_lo_u32 v9, s0, v4
	v_add_nc_u32_e32 v8, v8, v10
	v_mul_hi_u32 v10, v4, v9
	v_mul_lo_u32 v11, v4, v8
	v_mul_hi_u32 v12, v4, v8
	v_mul_hi_u32 v13, v7, v9
	v_mul_lo_u32 v9, v7, v9
	v_mul_hi_u32 v14, v7, v8
	v_mul_lo_u32 v8, v7, v8
	v_add_co_u32 v10, vcc_lo, v10, v11
	v_add_co_ci_u32_e32 v11, vcc_lo, 0, v12, vcc_lo
	v_add_co_u32 v9, vcc_lo, v10, v9
	v_add_co_ci_u32_e32 v9, vcc_lo, v11, v13, vcc_lo
	v_add_co_ci_u32_e32 v10, vcc_lo, 0, v14, vcc_lo
	v_add_co_u32 v8, vcc_lo, v9, v8
	v_add_co_ci_u32_e32 v9, vcc_lo, 0, v10, vcc_lo
	v_add_co_u32 v4, vcc_lo, v4, v8
	v_add_co_ci_u32_e32 v7, vcc_lo, v7, v9, vcc_lo
	v_mul_hi_u32 v8, s0, v4
	v_mul_lo_u32 v10, s22, v4
	v_mul_lo_u32 v9, s0, v7
	v_add_nc_u32_e32 v8, v8, v9
	v_mul_lo_u32 v9, s0, v4
	v_add_nc_u32_e32 v8, v8, v10
	v_mul_hi_u32 v10, v4, v9
	v_mul_lo_u32 v11, v4, v8
	v_mul_hi_u32 v12, v4, v8
	v_mul_hi_u32 v13, v7, v9
	v_mul_lo_u32 v9, v7, v9
	v_mul_hi_u32 v14, v7, v8
	v_mul_lo_u32 v8, v7, v8
	v_add_co_u32 v10, vcc_lo, v10, v11
	v_add_co_ci_u32_e32 v11, vcc_lo, 0, v12, vcc_lo
	v_add_co_u32 v9, vcc_lo, v10, v9
	v_add_co_ci_u32_e32 v9, vcc_lo, v11, v13, vcc_lo
	v_add_co_ci_u32_e32 v10, vcc_lo, 0, v14, vcc_lo
	v_add_co_u32 v8, vcc_lo, v9, v8
	v_add_co_ci_u32_e32 v9, vcc_lo, 0, v10, vcc_lo
	v_add_co_u32 v4, vcc_lo, v4, v8
	v_add_co_ci_u32_e32 v11, vcc_lo, v7, v9, vcc_lo
	v_mul_hi_u32 v13, v5, v4
	v_mad_u64_u32 v[9:10], null, v6, v4, 0
	v_mad_u64_u32 v[7:8], null, v5, v11, 0
	;; [unrolled: 1-line block ×3, first 2 shown]
	v_add_co_u32 v4, vcc_lo, v13, v7
	v_add_co_ci_u32_e32 v7, vcc_lo, 0, v8, vcc_lo
	v_add_co_u32 v4, vcc_lo, v4, v9
	v_add_co_ci_u32_e32 v4, vcc_lo, v7, v10, vcc_lo
	v_add_co_ci_u32_e32 v7, vcc_lo, 0, v12, vcc_lo
	v_add_co_u32 v4, vcc_lo, v4, v11
	v_add_co_ci_u32_e32 v9, vcc_lo, 0, v7, vcc_lo
	v_mul_lo_u32 v10, s21, v4
	v_mad_u64_u32 v[7:8], null, s20, v4, 0
	v_mul_lo_u32 v11, s20, v9
	v_sub_co_u32 v7, vcc_lo, v5, v7
	v_add3_u32 v8, v8, v11, v10
	v_sub_nc_u32_e32 v10, v6, v8
	v_subrev_co_ci_u32_e64 v10, s0, s21, v10, vcc_lo
	v_add_co_u32 v11, s0, v4, 2
	v_add_co_ci_u32_e64 v12, s0, 0, v9, s0
	v_sub_co_u32 v13, s0, v7, s20
	v_sub_co_ci_u32_e32 v8, vcc_lo, v6, v8, vcc_lo
	v_subrev_co_ci_u32_e64 v10, s0, 0, v10, s0
	v_cmp_le_u32_e32 vcc_lo, s20, v13
	v_cmp_eq_u32_e64 s0, s21, v8
	v_cndmask_b32_e64 v13, 0, -1, vcc_lo
	v_cmp_le_u32_e32 vcc_lo, s21, v10
	v_cndmask_b32_e64 v14, 0, -1, vcc_lo
	v_cmp_le_u32_e32 vcc_lo, s20, v7
	;; [unrolled: 2-line block ×3, first 2 shown]
	v_cndmask_b32_e64 v15, 0, -1, vcc_lo
	v_cmp_eq_u32_e32 vcc_lo, s21, v10
	v_cndmask_b32_e64 v7, v15, v7, s0
	v_cndmask_b32_e32 v10, v14, v13, vcc_lo
	v_add_co_u32 v13, vcc_lo, v4, 1
	v_add_co_ci_u32_e32 v14, vcc_lo, 0, v9, vcc_lo
	v_cmp_ne_u32_e32 vcc_lo, 0, v10
	v_cndmask_b32_e32 v8, v14, v12, vcc_lo
	v_cndmask_b32_e32 v10, v13, v11, vcc_lo
	v_cmp_ne_u32_e32 vcc_lo, 0, v7
	v_cndmask_b32_e32 v8, v9, v8, vcc_lo
	v_cndmask_b32_e32 v7, v4, v10, vcc_lo
.LBB0_4:                                ;   in Loop: Header=BB0_2 Depth=1
	s_andn2_saveexec_b32 s0, s1
	s_cbranch_execz .LBB0_6
; %bb.5:                                ;   in Loop: Header=BB0_2 Depth=1
	v_cvt_f32_u32_e32 v4, s20
	s_sub_i32 s1, 0, s20
	v_rcp_iflag_f32_e32 v4, v4
	v_mul_f32_e32 v4, 0x4f7ffffe, v4
	v_cvt_u32_f32_e32 v4, v4
	v_mul_lo_u32 v7, s1, v4
	v_mul_hi_u32 v7, v4, v7
	v_add_nc_u32_e32 v4, v4, v7
	v_mul_hi_u32 v4, v5, v4
	v_mul_lo_u32 v7, v4, s20
	v_add_nc_u32_e32 v8, 1, v4
	v_sub_nc_u32_e32 v7, v5, v7
	v_subrev_nc_u32_e32 v9, s20, v7
	v_cmp_le_u32_e32 vcc_lo, s20, v7
	v_cndmask_b32_e32 v7, v7, v9, vcc_lo
	v_cndmask_b32_e32 v4, v4, v8, vcc_lo
	v_cmp_le_u32_e32 vcc_lo, s20, v7
	v_add_nc_u32_e32 v8, 1, v4
	v_cndmask_b32_e32 v7, v4, v8, vcc_lo
	v_mov_b32_e32 v8, v3
.LBB0_6:                                ;   in Loop: Header=BB0_2 Depth=1
	s_or_b32 exec_lo, exec_lo, s0
	s_load_dwordx2 s[0:1], s[6:7], 0x0
	v_mul_lo_u32 v4, v8, s20
	v_mul_lo_u32 v11, v7, s21
	v_mad_u64_u32 v[9:10], null, v7, s20, 0
	s_add_u32 s18, s18, 1
	s_addc_u32 s19, s19, 0
	s_add_u32 s6, s6, 8
	s_addc_u32 s7, s7, 0
	;; [unrolled: 2-line block ×3, first 2 shown]
	v_add3_u32 v4, v10, v11, v4
	v_sub_co_u32 v5, vcc_lo, v5, v9
	v_sub_co_ci_u32_e32 v4, vcc_lo, v6, v4, vcc_lo
	s_waitcnt lgkmcnt(0)
	v_mul_lo_u32 v6, s1, v5
	v_mul_lo_u32 v4, s0, v4
	v_mad_u64_u32 v[1:2], null, s0, v5, v[1:2]
	v_cmp_ge_u64_e64 s0, s[18:19], s[10:11]
	s_and_b32 vcc_lo, exec_lo, s0
	v_add3_u32 v2, v6, v2, v4
	s_cbranch_vccnz .LBB0_9
; %bb.7:                                ;   in Loop: Header=BB0_2 Depth=1
	v_mov_b32_e32 v5, v7
	v_mov_b32_e32 v6, v8
	s_branch .LBB0_2
.LBB0_8:
	v_mov_b32_e32 v8, v6
	v_mov_b32_e32 v7, v5
.LBB0_9:
	s_lshl_b64 s[0:1], s[10:11], 3
	v_mul_hi_u32 v3, 0x1681682, v0
	s_add_u32 s0, s14, s0
	s_addc_u32 s1, s15, s1
	s_load_dwordx2 s[4:5], s[4:5], 0x20
	s_load_dwordx2 s[0:1], s[0:1], 0x0
	v_mul_u32_u24_e32 v3, 0xb6, v3
	v_sub_nc_u32_e32 v153, v0, v3
	v_add_nc_u32_e32 v157, 0xb6, v153
	v_add_nc_u32_e32 v155, 0x16c, v153
	;; [unrolled: 1-line block ×4, first 2 shown]
	s_waitcnt lgkmcnt(0)
	v_cmp_gt_u64_e32 vcc_lo, s[4:5], v[7:8]
	v_mul_lo_u32 v3, s0, v8
	v_mul_lo_u32 v4, s1, v7
	v_mad_u64_u32 v[0:1], null, s0, v7, v[1:2]
	v_cmp_le_u64_e64 s0, s[4:5], v[7:8]
                                        ; implicit-def: $sgpr4
	v_add3_u32 v1, v4, v1, v3
	s_and_saveexec_b32 s1, s0
	s_xor_b32 s0, exec_lo, s1
; %bb.10:
	v_add_nc_u32_e32 v157, 0xb6, v153
	v_add_nc_u32_e32 v155, 0x16c, v153
	;; [unrolled: 1-line block ×4, first 2 shown]
	s_mov_b32 s4, 0
; %bb.11:
	s_or_saveexec_b32 s1, s0
	v_lshlrev_b64 v[70:71], 4, v[0:1]
	v_mov_b32_e32 v152, s4
                                        ; implicit-def: $vgpr68_vgpr69
                                        ; implicit-def: $vgpr64_vgpr65
                                        ; implicit-def: $vgpr40_vgpr41
                                        ; implicit-def: $vgpr44_vgpr45
                                        ; implicit-def: $vgpr56_vgpr57
                                        ; implicit-def: $vgpr48_vgpr49
                                        ; implicit-def: $vgpr60_vgpr61
                                        ; implicit-def: $vgpr52_vgpr53
                                        ; implicit-def: $vgpr28_vgpr29
                                        ; implicit-def: $vgpr36_vgpr37
                                        ; implicit-def: $vgpr2_vgpr3
                                        ; implicit-def: $vgpr32_vgpr33
	s_xor_b32 exec_lo, exec_lo, s1
	s_cbranch_execz .LBB0_15
; %bb.12:
	v_add_nc_u32_e32 v10, 0x3e9, v153
	v_mad_u64_u32 v[0:1], null, s2, v153, 0
	v_add_nc_u32_e32 v12, 0x49f, v153
	v_mad_u64_u32 v[6:7], null, s2, v157, 0
	v_mad_u64_u32 v[2:3], null, s2, v10, 0
	;; [unrolled: 1-line block ×3, first 2 shown]
	v_add_nc_u32_e32 v18, 0x555, v153
	v_add_nc_u32_e32 v20, 0x60b, v153
	v_mad_u64_u32 v[16:17], null, s2, v154, 0
	v_mad_u64_u32 v[4:5], null, s3, v153, v[1:2]
	v_mov_b32_e32 v1, v3
	v_mad_u64_u32 v[14:15], null, s2, v18, 0
	v_add_nc_u32_e32 v23, 0x6c1, v153
	s_mov_b32 s4, exec_lo
	v_mad_u64_u32 v[10:11], null, s3, v10, v[1:2]
	v_mov_b32_e32 v1, v4
	v_add_co_u32 v4, s0, s12, v70
	v_add_co_ci_u32_e64 v5, s0, s13, v71, s0
	v_lshlrev_b64 v[0:1], 4, v[0:1]
	v_mov_b32_e32 v3, v10
	v_mad_u64_u32 v[10:11], null, s3, v157, v[7:8]
                                        ; implicit-def: $vgpr62_vgpr63
                                        ; implicit-def: $vgpr66_vgpr67
	v_lshlrev_b64 v[2:3], 4, v[2:3]
	v_add_co_u32 v0, s0, v4, v0
	v_add_co_ci_u32_e64 v1, s0, v5, v1, s0
	v_mad_u64_u32 v[11:12], null, s3, v12, v[9:10]
	v_mad_u64_u32 v[12:13], null, s2, v155, 0
	v_mov_b32_e32 v7, v10
	v_add_co_u32 v2, s0, v4, v2
	v_add_co_ci_u32_e64 v3, s0, v5, v3, s0
	v_mov_b32_e32 v9, v11
	v_mov_b32_e32 v10, v13
	v_lshlrev_b64 v[6:7], 4, v[6:7]
	s_clause 0x1
	global_load_dwordx4 v[30:33], v[0:1], off
	global_load_dwordx4 v[0:3], v[2:3], off
	v_lshlrev_b64 v[8:9], 4, v[8:9]
	v_mad_u64_u32 v[10:11], null, s3, v155, v[10:11]
	v_mov_b32_e32 v11, v15
	v_add_co_u32 v6, s0, v4, v6
	v_add_co_ci_u32_e64 v7, s0, v5, v7, s0
	v_mad_u64_u32 v[18:19], null, s3, v18, v[11:12]
	v_mov_b32_e32 v13, v10
	v_mad_u64_u32 v[10:11], null, s2, v20, 0
	v_add_co_u32 v8, s0, v4, v8
	v_add_co_ci_u32_e64 v9, s0, v5, v9, s0
	s_clause 0x1
	global_load_dwordx4 v[34:37], v[6:7], off
	global_load_dwordx4 v[26:29], v[8:9], off
	v_mad_u64_u32 v[8:9], null, s3, v154, v[17:18]
	v_lshlrev_b64 v[6:7], 4, v[12:13]
	v_mov_b32_e32 v9, v11
	v_mad_u64_u32 v[12:13], null, s2, v156, 0
	v_mov_b32_e32 v15, v18
	v_mad_u64_u32 v[18:19], null, s3, v20, v[9:10]
	v_mad_u64_u32 v[19:20], null, s2, v23, 0
	v_mov_b32_e32 v9, v13
	v_lshlrev_b64 v[13:14], 4, v[14:15]
	v_mov_b32_e32 v17, v8
	v_add_co_u32 v6, s0, v4, v6
	v_mad_u64_u32 v[8:9], null, s3, v156, v[9:10]
	v_mov_b32_e32 v9, v20
	v_add_co_ci_u32_e64 v7, s0, v5, v7, s0
	v_add_co_u32 v21, s0, v4, v13
	v_add_co_ci_u32_e64 v22, s0, v5, v14, s0
	v_lshlrev_b64 v[14:15], 4, v[16:17]
	v_mad_u64_u32 v[16:17], null, s3, v23, v[9:10]
	v_mov_b32_e32 v11, v18
	v_mov_b32_e32 v13, v8
	v_add_co_u32 v14, s0, v4, v14
	v_lshlrev_b64 v[9:10], 4, v[10:11]
	v_mov_b32_e32 v20, v16
	v_lshlrev_b64 v[11:12], 4, v[12:13]
	v_add_co_ci_u32_e64 v15, s0, v5, v15, s0
	v_add_co_u32 v8, s0, v4, v9
	v_lshlrev_b64 v[16:17], 4, v[19:20]
	v_add_co_ci_u32_e64 v9, s0, v5, v10, s0
	v_add_co_u32 v10, s0, v4, v11
	v_add_co_ci_u32_e64 v11, s0, v5, v12, s0
	v_add_co_u32 v12, s0, v4, v16
	v_add_co_ci_u32_e64 v13, s0, v5, v17, s0
	s_clause 0x5
	global_load_dwordx4 v[50:53], v[6:7], off
	global_load_dwordx4 v[58:61], v[21:22], off
	;; [unrolled: 1-line block ×6, first 2 shown]
	v_cmpx_gt_u32_e32 0x5b, v153
	s_cbranch_execz .LBB0_14
; %bb.13:
	v_add_nc_u32_e32 v10, 0x38e, v153
	v_add_nc_u32_e32 v12, 0x777, v153
	v_mad_u64_u32 v[6:7], null, s2, v10, 0
	v_mad_u64_u32 v[8:9], null, s2, v12, 0
	;; [unrolled: 1-line block ×4, first 2 shown]
	v_mov_b32_e32 v7, v10
	v_lshlrev_b64 v[6:7], 4, v[6:7]
	v_mov_b32_e32 v9, v11
	v_add_co_u32 v6, s0, v4, v6
	v_lshlrev_b64 v[8:9], 4, v[8:9]
	v_add_co_ci_u32_e64 v7, s0, v5, v7, s0
	v_add_co_u32 v4, s0, v4, v8
	v_add_co_ci_u32_e64 v5, s0, v5, v9, s0
	s_clause 0x1
	global_load_dwordx4 v[62:65], v[6:7], off
	global_load_dwordx4 v[66:69], v[4:5], off
.LBB0_14:
	s_or_b32 exec_lo, exec_lo, s4
	v_mov_b32_e32 v152, v153
.LBB0_15:
	s_or_b32 exec_lo, exec_lo, s1
	s_waitcnt vmcnt(8)
	v_add_f64 v[6:7], v[30:31], -v[0:1]
	s_waitcnt vmcnt(6)
	v_add_f64 v[22:23], v[34:35], -v[26:27]
	;; [unrolled: 2-line block ×5, first 2 shown]
	v_add_f64 v[26:27], v[62:63], -v[66:67]
	v_add_nc_u32_e32 v0, 0x38e, v153
	v_cmp_gt_u32_e64 s1, 0x5b, v153
	v_lshl_add_u32 v66, v157, 4, 0
	v_lshl_add_u32 v59, v156, 4, 0
	v_fma_f64 v[4:5], v[30:31], 2.0, -v[6:7]
	v_fma_f64 v[20:21], v[34:35], 2.0, -v[22:23]
	;; [unrolled: 1-line block ×6, first 2 shown]
	v_lshl_add_u32 v50, v153, 4, 0
	v_lshl_add_u32 v63, v155, 4, 0
	;; [unrolled: 1-line block ×4, first 2 shown]
	ds_write_b128 v50, v[4:7]
	ds_write_b128 v66, v[20:23]
	;; [unrolled: 1-line block ×5, first 2 shown]
	s_and_saveexec_b32 s0, s1
	s_cbranch_execz .LBB0_17
; %bb.16:
	ds_write_b128 v51, v[24:27]
.LBB0_17:
	s_or_b32 exec_lo, exec_lo, s0
	v_cmp_gt_u32_e64 s0, 0x9a, v153
	v_lshlrev_b32_e32 v58, 3, v153
	s_waitcnt lgkmcnt(0)
	s_barrier
	buffer_gl0_inv
                                        ; implicit-def: $vgpr54_vgpr55
	s_and_saveexec_b32 s4, s0
	s_cbranch_execz .LBB0_19
; %bb.18:
	v_sub_nc_u32_e32 v0, v50, v58
	v_add_nc_u32_e32 v1, 0x800, v0
	v_add_nc_u32_e32 v8, 0x1200, v0
	;; [unrolled: 1-line block ×5, first 2 shown]
	ds_read2_b64 v[4:7], v0 offset1:154
	ds_read2_b64 v[20:23], v1 offset0:52 offset1:206
	ds_read2_b64 v[16:19], v8 offset0:40 offset1:194
	;; [unrolled: 1-line block ×5, first 2 shown]
	ds_read_b64 v[54:55], v0 offset:14784
.LBB0_19:
	s_or_b32 exec_lo, exec_lo, s4
	v_add_f64 v[2:3], v[32:33], -v[2:3]
	v_add_f64 v[42:43], v[36:37], -v[28:29]
	v_add_f64 v[38:39], v[52:53], -v[60:61]
	v_add_f64 v[30:31], v[48:49], -v[56:57]
	v_add_f64 v[34:35], v[44:45], -v[40:41]
	v_add_f64 v[46:47], v[64:65], -v[68:69]
	s_waitcnt lgkmcnt(0)
	s_barrier
	buffer_gl0_inv
	v_fma_f64 v[0:1], v[32:33], 2.0, -v[2:3]
	v_fma_f64 v[40:41], v[36:37], 2.0, -v[42:43]
	;; [unrolled: 1-line block ×6, first 2 shown]
	ds_write_b128 v50, v[0:3]
	ds_write_b128 v66, v[40:43]
	;; [unrolled: 1-line block ×5, first 2 shown]
	s_and_saveexec_b32 s4, s1
	s_cbranch_execz .LBB0_21
; %bb.20:
	ds_write_b128 v51, v[44:47]
.LBB0_21:
	s_or_b32 exec_lo, exec_lo, s4
	s_waitcnt lgkmcnt(0)
	s_barrier
	buffer_gl0_inv
                                        ; implicit-def: $vgpr48_vgpr49
	s_and_saveexec_b32 s1, s0
	s_cbranch_execz .LBB0_23
; %bb.22:
	v_sub_nc_u32_e32 v48, v50, v58
	v_add_nc_u32_e32 v28, 0x800, v48
	v_add_nc_u32_e32 v29, 0x1200, v48
	;; [unrolled: 1-line block ×5, first 2 shown]
	ds_read2_b64 v[0:3], v48 offset1:154
	ds_read2_b64 v[40:43], v28 offset0:52 offset1:206
	ds_read2_b64 v[36:39], v29 offset0:40 offset1:194
	;; [unrolled: 1-line block ×5, first 2 shown]
	ds_read_b64 v[48:49], v48 offset:14784
.LBB0_23:
	s_or_b32 exec_lo, exec_lo, s1
	v_and_b32_e32 v160, 1, v153
	s_mov_b32 s24, 0x42a4c3d2
	s_mov_b32 s22, 0x2ef20147
	;; [unrolled: 1-line block ×4, first 2 shown]
	v_mul_u32_u24_e32 v50, 12, v160
	s_mov_b32 s28, 0x24c2f84
	s_mov_b32 s21, 0xbfddbe06
	;; [unrolled: 1-line block ×4, first 2 shown]
	v_lshlrev_b32_e32 v50, 4, v50
	s_mov_b32 s23, 0xbfedeba7
	s_mov_b32 s35, 0xbfefc445
	;; [unrolled: 1-line block ×4, first 2 shown]
	s_clause 0xb
	global_load_dwordx4 v[56:59], v50, s[8:9] offset:176
	global_load_dwordx4 v[60:63], v50, s[8:9]
	global_load_dwordx4 v[64:67], v50, s[8:9] offset:16
	global_load_dwordx4 v[74:77], v50, s[8:9] offset:160
	;; [unrolled: 1-line block ×10, first 2 shown]
	s_mov_b32 s4, 0xe00740e9
	s_mov_b32 s6, 0x1ea71119
	;; [unrolled: 1-line block ×22, first 2 shown]
	s_waitcnt vmcnt(0) lgkmcnt(0)
	s_barrier
	buffer_gl0_inv
	v_mul_f64 v[50:51], v[54:55], v[58:59]
	v_mul_f64 v[52:53], v[6:7], v[62:63]
	;; [unrolled: 1-line block ×15, first 2 shown]
	v_fma_f64 v[48:49], v[48:49], v[56:57], v[50:51]
	v_fma_f64 v[50:51], v[2:3], v[60:61], v[52:53]
	v_mul_f64 v[2:3], v[22:23], v[82:83]
	v_fma_f64 v[52:53], v[40:41], v[64:65], v[68:69]
	v_fma_f64 v[40:41], v[46:47], v[74:75], v[72:73]
	v_fma_f64 v[76:77], v[54:55], v[56:57], -v[58:59]
	v_fma_f64 v[78:79], v[6:7], v[60:61], -v[62:63]
	v_mul_f64 v[68:69], v[42:43], v[82:83]
	v_mul_f64 v[56:57], v[36:37], v[92:93]
	;; [unrolled: 1-line block ×6, first 2 shown]
	v_fma_f64 v[72:73], v[20:21], v[64:65], -v[66:67]
	v_fma_f64 v[74:75], v[26:27], v[74:75], -v[98:99]
	v_add_f64 v[6:7], v[50:51], -v[48:49]
	v_fma_f64 v[46:47], v[42:43], v[80:81], v[2:3]
	v_fma_f64 v[42:43], v[44:45], v[84:85], v[88:89]
	v_mul_f64 v[2:3], v[8:9], v[124:125]
	v_add_f64 v[64:65], v[52:53], -v[40:41]
	v_add_f64 v[104:105], v[78:79], v[76:77]
	v_fma_f64 v[66:67], v[22:23], v[80:81], -v[68:69]
	v_fma_f64 v[62:63], v[16:17], v[90:91], -v[56:57]
	v_fma_f64 v[36:37], v[36:37], v[90:91], v[58:59]
	v_fma_f64 v[68:69], v[24:25], v[84:85], -v[86:87]
	v_fma_f64 v[56:57], v[18:19], v[94:95], -v[60:61]
	v_fma_f64 v[16:17], v[34:35], v[100:101], v[96:97]
	v_fma_f64 v[26:27], v[38:39], v[94:95], v[92:93]
	v_add_f64 v[116:117], v[72:73], v[74:75]
	v_mul_f64 v[124:125], v[30:31], v[128:129]
	v_fma_f64 v[18:19], v[32:33], v[108:109], v[110:111]
	v_mul_f64 v[20:21], v[6:7], s[20:21]
	v_mul_f64 v[44:45], v[6:7], s[24:25]
	;; [unrolled: 1-line block ×6, first 2 shown]
	s_mov_b32 s21, 0x3fddbe06
	v_add_f64 v[6:7], v[46:47], -v[42:43]
	v_fma_f64 v[22:23], v[28:29], v[122:123], v[2:3]
	v_mul_f64 v[34:35], v[64:65], s[24:25]
	v_mul_f64 v[38:39], v[64:65], s[22:23]
	v_mul_f64 v[84:85], v[64:65], s[26:27]
	v_mul_f64 v[90:91], v[64:65], s[36:37]
	v_mul_f64 v[102:103], v[64:65], s[30:31]
	v_mul_f64 v[106:107], v[64:65], s[20:21]
	v_fma_f64 v[64:65], v[14:15], v[100:101], -v[118:119]
	v_add_f64 v[118:119], v[66:67], v[68:69]
	v_add_f64 v[14:15], v[36:37], -v[16:17]
	v_fma_f64 v[2:3], v[104:105], s[4:5], v[20:21]
	v_fma_f64 v[24:25], v[104:105], s[6:7], v[44:45]
	;; [unrolled: 1-line block ×6, first 2 shown]
	v_mul_f64 v[28:29], v[6:7], s[34:35]
	v_mul_f64 v[32:33], v[6:7], s[26:27]
	;; [unrolled: 1-line block ×6, first 2 shown]
	v_fma_f64 v[6:7], v[116:117], s[6:7], v[34:35]
	v_fma_f64 v[128:129], v[116:117], s[10:11], v[38:39]
	;; [unrolled: 1-line block ×6, first 2 shown]
	v_mul_f64 v[100:101], v[14:15], s[36:37]
	v_mul_f64 v[110:111], v[14:15], s[20:21]
	v_add_f64 v[2:3], v[4:5], v[2:3]
	v_add_f64 v[140:141], v[4:5], v[24:25]
	;; [unrolled: 1-line block ×6, first 2 shown]
	v_fma_f64 v[24:25], v[30:31], v[126:127], v[112:113]
	v_fma_f64 v[60:61], v[12:13], v[108:109], -v[114:115]
	v_add_f64 v[120:121], v[62:63], v[64:65]
	v_add_f64 v[12:13], v[26:27], -v[18:19]
	v_mul_f64 v[94:95], v[14:15], s[22:23]
	v_mul_f64 v[108:109], v[14:15], s[34:35]
	;; [unrolled: 1-line block ×4, first 2 shown]
	v_fma_f64 v[14:15], v[118:119], s[14:15], v[28:29]
	v_fma_f64 v[148:149], v[118:119], s[16:17], v[32:33]
	;; [unrolled: 1-line block ×6, first 2 shown]
	v_fma_f64 v[30:31], v[8:9], v[122:123], -v[130:131]
	v_add_f64 v[2:3], v[6:7], v[2:3]
	v_add_f64 v[6:7], v[128:129], v[140:141]
	;; [unrolled: 1-line block ×6, first 2 shown]
	v_fma_f64 v[58:59], v[10:11], v[126:127], -v[124:125]
	v_add_f64 v[128:129], v[56:57], v[60:61]
	v_add_f64 v[8:9], v[22:23], -v[24:25]
	v_mul_f64 v[122:123], v[12:13], s[28:29]
	v_mul_f64 v[124:125], v[12:13], s[30:31]
	;; [unrolled: 1-line block ×6, first 2 shown]
	v_fma_f64 v[10:11], v[120:121], s[10:11], v[94:95]
	v_fma_f64 v[12:13], v[120:121], s[18:19], v[100:101]
	;; [unrolled: 1-line block ×6, first 2 shown]
	v_add_f64 v[2:3], v[14:15], v[2:3]
	v_add_f64 v[6:7], v[148:149], v[6:7]
	;; [unrolled: 1-line block ×7, first 2 shown]
	v_mul_f64 v[132:133], v[8:9], s[26:27]
	v_mul_f64 v[138:139], v[8:9], s[28:29]
	;; [unrolled: 1-line block ×6, first 2 shown]
	v_fma_f64 v[8:9], v[128:129], s[18:19], v[122:123]
	v_fma_f64 v[163:164], v[128:129], s[14:15], v[124:125]
	;; [unrolled: 1-line block ×6, first 2 shown]
	v_add_f64 v[2:3], v[10:11], v[2:3]
	v_add_f64 v[6:7], v[12:13], v[6:7]
	;; [unrolled: 1-line block ×6, first 2 shown]
	v_fma_f64 v[158:159], v[146:147], s[16:17], v[132:133]
	v_fma_f64 v[161:162], v[146:147], s[18:19], v[138:139]
	;; [unrolled: 1-line block ×6, first 2 shown]
	v_add_f64 v[2:3], v[8:9], v[2:3]
	v_add_f64 v[8:9], v[163:164], v[6:7]
	;; [unrolled: 1-line block ×12, first 2 shown]
	v_lshrrev_b32_e32 v161, 1, v153
	s_and_saveexec_b32 s1, s0
	s_cbranch_execz .LBB0_25
; %bb.24:
	v_add_f64 v[150:151], v[4:5], v[78:79]
	v_mul_f64 v[164:165], v[104:105], s[14:15]
	v_mul_f64 v[166:167], v[104:105], s[6:7]
	;; [unrolled: 1-line block ×12, first 2 shown]
	v_add_f64 v[150:151], v[150:151], v[72:73]
	v_add_f64 v[82:83], v[164:165], -v[82:83]
	v_add_f64 v[44:45], v[166:167], -v[44:45]
	;; [unrolled: 1-line block ×6, first 2 shown]
	v_mul_f64 v[158:159], v[118:119], s[16:17]
	v_mul_f64 v[162:163], v[118:119], s[10:11]
	v_add_f64 v[84:85], v[176:177], -v[84:85]
	v_add_f64 v[38:39], v[178:179], -v[38:39]
	v_mul_f64 v[164:165], v[118:119], s[4:5]
	v_mul_f64 v[166:167], v[118:119], s[6:7]
	v_add_f64 v[102:103], v[172:173], -v[102:103]
	v_add_f64 v[90:91], v[174:175], -v[90:91]
	;; [unrolled: 1-line block ×4, first 2 shown]
	v_mul_f64 v[116:117], v[120:121], s[18:19]
	v_mul_f64 v[168:169], v[120:121], s[4:5]
	;; [unrolled: 1-line block ×4, first 2 shown]
	v_add_f64 v[150:151], v[150:151], v[66:67]
	v_add_f64 v[82:83], v[4:5], v[82:83]
	;; [unrolled: 1-line block ×7, first 2 shown]
	v_add_f64 v[32:33], v[158:159], -v[32:33]
	v_add_f64 v[80:81], v[162:163], -v[80:81]
	;; [unrolled: 1-line block ×8, first 2 shown]
	v_add_f64 v[150:151], v[150:151], v[62:63]
	v_add_f64 v[82:83], v[84:85], v[82:83]
	;; [unrolled: 1-line block ×7, first 2 shown]
	v_mul_f64 v[54:55], v[128:129], s[14:15]
	v_mul_f64 v[84:85], v[128:129], s[6:7]
	;; [unrolled: 1-line block ×6, first 2 shown]
	v_add_f64 v[150:151], v[150:151], v[56:57]
	v_add_f64 v[80:81], v[80:81], v[82:83]
	;; [unrolled: 1-line block ×5, first 2 shown]
	v_mul_f64 v[44:45], v[146:147], s[4:5]
	v_mul_f64 v[82:83], v[146:147], s[18:19]
	v_add_f64 v[54:55], v[54:55], -v[124:125]
	v_add_f64 v[84:85], v[84:85], -v[126:127]
	v_mul_f64 v[88:89], v[146:147], s[6:7]
	v_mul_f64 v[92:93], v[146:147], s[10:11]
	v_add_f64 v[102:103], v[102:103], -v[134:135]
	v_add_f64 v[90:91], v[90:91], -v[130:131]
	;; [unrolled: 1-line block ×3, first 2 shown]
	v_add_f64 v[104:105], v[150:151], v[30:31]
	v_mul_f64 v[150:151], v[118:119], s[14:15]
	v_mul_f64 v[118:119], v[118:119], s[18:19]
	v_add_f64 v[80:81], v[110:111], v[80:81]
	v_add_f64 v[32:33], v[100:101], v[32:33]
	;; [unrolled: 1-line block ×4, first 2 shown]
	v_add_f64 v[82:83], v[82:83], -v[138:139]
	v_add_f64 v[44:45], v[44:45], -v[144:145]
	;; [unrolled: 1-line block ×4, first 2 shown]
	v_add_f64 v[20:21], v[104:105], v[58:59]
	v_mul_f64 v[104:105], v[120:121], s[10:11]
	v_mul_f64 v[120:121], v[120:121], s[6:7]
	v_add_f64 v[96:97], v[118:119], -v[96:97]
	v_add_f64 v[28:29], v[150:151], -v[28:29]
	v_add_f64 v[80:81], v[84:85], v[80:81]
	v_add_f64 v[32:33], v[54:55], v[32:33]
	;; [unrolled: 1-line block ×5, first 2 shown]
	v_add_f64 v[94:95], v[104:105], -v[94:95]
	v_add_f64 v[114:115], v[120:121], -v[114:115]
	v_add_f64 v[96:97], v[96:97], v[98:99]
	v_add_f64 v[4:5], v[28:29], v[4:5]
	v_mul_f64 v[98:99], v[146:147], s[14:15]
	v_add_f64 v[104:105], v[106:107], -v[136:137]
	v_mul_f64 v[28:29], v[146:147], s[16:17]
	v_add_f64 v[80:81], v[82:83], v[80:81]
	v_add_f64 v[32:33], v[44:45], v[32:33]
	;; [unrolled: 1-line block ×7, first 2 shown]
	v_add_f64 v[94:95], v[98:99], -v[148:149]
	v_add_f64 v[28:29], v[28:29], -v[132:133]
	v_add_f64 v[20:21], v[20:21], v[68:69]
	v_add_f64 v[96:97], v[104:105], v[96:97]
	;; [unrolled: 1-line block ×6, first 2 shown]
	v_mul_u32_u24_e32 v28, 26, v161
	v_or_b32_e32 v28, v28, v160
	v_lshl_add_u32 v28, v28, 3, 0
	v_add_f64 v[20:21], v[20:21], v[76:77]
	ds_write2_b64 v28, v[14:15], v[12:13] offset0:16 offset1:18
	ds_write2_b64 v28, v[10:11], v[8:9] offset0:20 offset1:22
	;; [unrolled: 1-line block ×5, first 2 shown]
	ds_write2_b64 v28, v[20:21], v[4:5] offset1:2
	ds_write_b64 v28, v[6:7] offset:192
.LBB0_25:
	s_or_b32 exec_lo, exec_lo, s1
	v_lshl_add_u32 v158, v153, 3, 0
	s_waitcnt lgkmcnt(0)
	s_barrier
	buffer_gl0_inv
	v_cmp_gt_u32_e64 s1, 0x68, v153
	ds_read_b64 v[20:21], v158
	ds_read_b64 v[34:35], v158 offset:2288
	ds_read_b64 v[38:39], v158 offset:4576
	;; [unrolled: 1-line block ×6, first 2 shown]
	v_lshl_add_u32 v159, v157, 3, 0
                                        ; implicit-def: $vgpr4_vgpr5
	s_and_saveexec_b32 s4, s1
	s_cbranch_execz .LBB0_27
; %bb.26:
	ds_read_b64 v[14:15], v158 offset:3744
	ds_read_b64 v[12:13], v158 offset:6032
	;; [unrolled: 1-line block ×5, first 2 shown]
	ds_read_b64 v[2:3], v159
	ds_read_b64 v[4:5], v158 offset:15184
.LBB0_27:
	s_or_b32 exec_lo, exec_lo, s4
	v_add_f64 v[82:83], v[78:79], -v[76:77]
	s_mov_b32 s22, 0x42a4c3d2
	s_mov_b32 s26, 0x66966769
	;; [unrolled: 1-line block ×9, first 2 shown]
	v_add_f64 v[76:77], v[50:51], v[48:49]
	v_add_f64 v[94:95], v[72:73], -v[74:75]
	s_mov_b32 s4, 0xe00740e9
	s_mov_b32 s10, 0xebaa3ed8
	s_mov_b32 s14, 0xb2365da1
	s_mov_b32 s16, 0xd0032e0c
	s_mov_b32 s18, 0x93053d00
	s_mov_b32 s5, 0x3fec55a7
	s_mov_b32 s11, 0x3fbedb7d
	s_mov_b32 s15, 0xbfd6b1d8
	s_mov_b32 s17, 0xbfe7f3cc
	s_mov_b32 s19, 0xbfef11f4
	v_mul_f64 v[84:85], v[82:83], s[20:21]
	v_mul_f64 v[80:81], v[82:83], s[22:23]
	;; [unrolled: 1-line block ×6, first 2 shown]
	s_mov_b32 s35, 0x3fefc445
	s_mov_b32 s36, s28
	;; [unrolled: 1-line block ×4, first 2 shown]
	v_add_f64 v[86:87], v[52:53], v[40:41]
	v_add_f64 v[110:111], v[66:67], -v[68:69]
	v_mul_f64 v[92:93], v[94:95], s[22:23]
	v_mul_f64 v[90:91], v[94:95], s[24:25]
	;; [unrolled: 1-line block ×5, first 2 shown]
	v_add_f64 v[62:63], v[62:63], -v[64:65]
	v_mul_f64 v[106:107], v[94:95], s[20:21]
	s_mov_b32 s39, 0x3fedeba7
	s_mov_b32 s38, s24
	v_add_f64 v[102:103], v[46:47], v[42:43]
	v_fma_f64 v[108:109], v[76:77], s[4:5], -v[84:85]
	v_fma_f64 v[112:113], v[76:77], s[6:7], -v[80:81]
	;; [unrolled: 1-line block ×6, first 2 shown]
	s_mov_b32 s41, 0x3fea55e2
	s_mov_b32 s40, s22
	v_add_f64 v[56:57], v[56:57], -v[60:61]
	v_add_f64 v[146:147], v[26:27], v[18:19]
	v_add_f64 v[30:31], v[30:31], -v[58:59]
	v_mul_f64 v[104:105], v[110:111], s[26:27]
	v_mul_f64 v[100:101], v[110:111], s[30:31]
	;; [unrolled: 1-line block ×5, first 2 shown]
	v_fma_f64 v[120:121], v[86:87], s[6:7], -v[92:93]
	v_fma_f64 v[122:123], v[86:87], s[14:15], -v[90:91]
	;; [unrolled: 1-line block ×5, first 2 shown]
	v_mul_f64 v[110:111], v[110:111], s[28:29]
	v_add_f64 v[130:131], v[0:1], v[108:109]
	v_add_f64 v[132:133], v[0:1], v[112:113]
	v_add_f64 v[114:115], v[0:1], v[114:115]
	v_add_f64 v[116:117], v[0:1], v[116:117]
	v_add_f64 v[118:119], v[0:1], v[118:119]
	v_fma_f64 v[134:135], v[86:87], s[4:5], -v[106:107]
	v_add_f64 v[64:65], v[0:1], v[64:65]
	s_mov_b32 s39, 0x3fcea1e5
	s_mov_b32 s38, s30
	v_add_f64 v[108:109], v[36:37], v[16:17]
	v_mul_f64 v[112:113], v[62:63], s[24:25]
	v_fma_f64 v[60:61], v[102:103], s[10:11], -v[104:105]
	v_fma_f64 v[136:137], v[102:103], s[18:19], -v[100:101]
	;; [unrolled: 1-line block ×5, first 2 shown]
	s_waitcnt lgkmcnt(0)
	s_barrier
	buffer_gl0_inv
	v_add_f64 v[144:145], v[120:121], v[130:131]
	v_add_f64 v[148:149], v[122:123], v[132:133]
	;; [unrolled: 1-line block ×5, first 2 shown]
	v_mul_f64 v[122:123], v[62:63], s[36:37]
	v_mul_f64 v[116:117], v[62:63], s[26:27]
	;; [unrolled: 1-line block ×5, first 2 shown]
	v_fma_f64 v[62:63], v[102:103], s[16:17], -v[110:111]
	v_add_f64 v[64:65], v[134:135], v[64:65]
	v_mul_f64 v[132:133], v[56:57], s[28:29]
	v_mul_f64 v[130:131], v[56:57], s[34:35]
	;; [unrolled: 1-line block ×5, first 2 shown]
	v_fma_f64 v[58:59], v[108:109], s[14:15], -v[112:113]
	v_mul_f64 v[134:135], v[30:31], s[30:31]
	v_add_f64 v[60:61], v[60:61], v[144:145]
	v_add_f64 v[166:167], v[136:137], v[148:149]
	v_add_f64 v[168:169], v[138:139], v[150:151]
	v_add_f64 v[162:163], v[142:143], v[162:163]
	v_add_f64 v[164:165], v[140:141], v[164:165]
	v_mul_f64 v[138:139], v[56:57], s[20:21]
	v_fma_f64 v[56:57], v[108:109], s[16:17], -v[122:123]
	v_fma_f64 v[170:171], v[108:109], s[4:5], -v[124:125]
	;; [unrolled: 1-line block ×5, first 2 shown]
	v_add_f64 v[62:63], v[62:63], v[64:65]
	v_add_f64 v[150:151], v[22:23], v[24:25]
	v_mul_f64 v[136:137], v[30:31], s[28:29]
	v_mul_f64 v[140:141], v[30:31], s[40:41]
	;; [unrolled: 1-line block ×5, first 2 shown]
	v_fma_f64 v[30:31], v[146:147], s[16:17], -v[132:133]
	v_fma_f64 v[64:65], v[146:147], s[10:11], -v[130:131]
	;; [unrolled: 1-line block ×5, first 2 shown]
	v_add_f64 v[58:59], v[58:59], v[60:61]
	v_fma_f64 v[184:185], v[146:147], s[4:5], -v[138:139]
	v_add_f64 v[56:57], v[56:57], v[166:167]
	v_add_f64 v[60:61], v[170:171], v[168:169]
	;; [unrolled: 1-line block ×5, first 2 shown]
	v_fma_f64 v[166:167], v[150:151], s[18:19], -v[134:135]
	v_fma_f64 v[168:169], v[150:151], s[16:17], -v[136:137]
	;; [unrolled: 1-line block ×6, first 2 shown]
	v_add_f64 v[30:31], v[30:31], v[58:59]
	v_add_f64 v[58:59], v[64:65], v[56:57]
	;; [unrolled: 1-line block ×12, first 2 shown]
	s_and_saveexec_b32 s20, s0
	s_cbranch_execz .LBB0_29
; %bb.28:
	v_add_f64 v[50:51], v[0:1], v[50:51]
	v_mul_f64 v[162:163], v[76:77], s[14:15]
	v_mul_f64 v[164:165], v[76:77], s[16:17]
	;; [unrolled: 1-line block ×6, first 2 shown]
	v_add_f64 v[50:51], v[50:51], v[52:53]
	v_mul_f64 v[52:53], v[76:77], s[10:11]
	v_add_f64 v[74:75], v[74:75], v[162:163]
	v_add_f64 v[72:73], v[72:73], v[164:165]
	v_add_f64 v[90:91], v[90:91], v[166:167]
	v_add_f64 v[88:89], v[88:89], v[168:169]
	v_add_f64 v[68:69], v[68:69], v[170:171]
	v_add_f64 v[66:67], v[66:67], v[172:173]
	v_mul_f64 v[162:163], v[108:109], s[18:19]
	v_add_f64 v[46:47], v[50:51], v[46:47]
	v_mul_f64 v[50:51], v[76:77], s[6:7]
	v_add_f64 v[52:53], v[78:79], v[52:53]
	v_mul_f64 v[78:79], v[102:103], s[18:19]
	v_add_f64 v[74:75], v[0:1], v[74:75]
	v_add_f64 v[72:73], v[0:1], v[72:73]
	v_add_f64 v[36:37], v[46:47], v[36:37]
	v_mul_f64 v[46:47], v[76:77], s[4:5]
	v_mul_f64 v[76:77], v[76:77], s[18:19]
	v_add_f64 v[50:51], v[80:81], v[50:51]
	v_mul_f64 v[80:81], v[102:103], s[14:15]
	v_add_f64 v[52:53], v[0:1], v[52:53]
	v_add_f64 v[78:79], v[100:101], v[78:79]
	;; [unrolled: 1-line block ×3, first 2 shown]
	v_mul_f64 v[72:73], v[146:147], s[6:7]
	v_add_f64 v[26:27], v[36:37], v[26:27]
	v_mul_f64 v[36:37], v[86:87], s[6:7]
	v_add_f64 v[46:47], v[84:85], v[46:47]
	;; [unrolled: 2-line block ×3, first 2 shown]
	v_add_f64 v[50:51], v[0:1], v[50:51]
	v_mul_f64 v[82:83], v[102:103], s[4:5]
	v_mul_f64 v[84:85], v[102:103], s[6:7]
	v_add_f64 v[80:81], v[96:97], v[80:81]
	v_add_f64 v[96:97], v[118:119], v[162:163]
	;; [unrolled: 1-line block ×4, first 2 shown]
	v_mul_f64 v[26:27], v[102:103], s[10:11]
	v_add_f64 v[36:37], v[92:93], v[36:37]
	v_add_f64 v[46:47], v[0:1], v[46:47]
	v_mul_f64 v[102:103], v[102:103], s[16:17]
	v_add_f64 v[86:87], v[106:107], v[86:87]
	v_add_f64 v[0:1], v[0:1], v[76:77]
	v_mul_f64 v[76:77], v[108:109], s[16:17]
	v_mul_f64 v[92:93], v[108:109], s[4:5]
	;; [unrolled: 1-line block ×3, first 2 shown]
	v_add_f64 v[82:83], v[98:99], v[82:83]
	v_add_f64 v[84:85], v[94:95], v[84:85]
	;; [unrolled: 1-line block ×3, first 2 shown]
	v_mul_f64 v[24:25], v[108:109], s[14:15]
	v_add_f64 v[26:27], v[104:105], v[26:27]
	v_add_f64 v[36:37], v[36:37], v[46:47]
	v_add_f64 v[46:47], v[90:91], v[50:51]
	v_add_f64 v[50:51], v[88:89], v[52:53]
	v_add_f64 v[52:53], v[68:69], v[74:75]
	v_mul_f64 v[108:109], v[108:109], s[6:7]
	v_add_f64 v[94:95], v[110:111], v[102:103]
	v_add_f64 v[0:1], v[86:87], v[0:1]
	v_mul_f64 v[68:69], v[146:147], s[10:11]
	v_add_f64 v[76:77], v[122:123], v[76:77]
	v_add_f64 v[90:91], v[124:125], v[92:93]
	v_mul_f64 v[74:75], v[146:147], s[18:19]
	v_mul_f64 v[86:87], v[146:147], s[4:5]
	v_add_f64 v[92:93], v[116:117], v[106:107]
	v_mul_f64 v[88:89], v[146:147], s[14:15]
	v_add_f64 v[18:19], v[22:23], v[18:19]
	v_mul_f64 v[22:23], v[146:147], s[16:17]
	v_add_f64 v[24:25], v[112:113], v[24:25]
	v_add_f64 v[26:27], v[26:27], v[36:37]
	v_add_f64 v[36:37], v[78:79], v[46:47]
	;; [unrolled: 1-line block ×7, first 2 shown]
	v_mul_f64 v[66:67], v[150:151], s[4:5]
	v_mul_f64 v[78:79], v[150:151], s[16:17]
	v_add_f64 v[68:69], v[130:131], v[68:69]
	v_mul_f64 v[80:81], v[150:151], s[6:7]
	v_mul_f64 v[82:83], v[150:151], s[14:15]
	v_add_f64 v[74:75], v[126:127], v[74:75]
	v_add_f64 v[86:87], v[138:139], v[86:87]
	v_mul_f64 v[84:85], v[150:151], s[10:11]
	v_add_f64 v[88:89], v[120:121], v[88:89]
	v_add_f64 v[16:17], v[18:19], v[16:17]
	;; [unrolled: 3-line block ×3, first 2 shown]
	v_add_f64 v[26:27], v[76:77], v[36:37]
	v_add_f64 v[36:37], v[90:91], v[46:47]
	v_add_f64 v[46:47], v[92:93], v[50:51]
	v_add_f64 v[50:51], v[96:97], v[52:53]
	v_add_f64 v[0:1], v[98:99], v[0:1]
	v_add_f64 v[52:53], v[136:137], v[78:79]
	v_add_f64 v[76:77], v[142:143], v[82:83]
	v_add_f64 v[78:79], v[144:145], v[84:85]
	v_add_f64 v[16:17], v[16:17], v[42:43]
	v_add_f64 v[18:19], v[134:135], v[18:19]
	v_add_f64 v[42:43], v[148:149], v[66:67]
	v_add_f64 v[22:23], v[22:23], v[24:25]
	v_add_f64 v[24:25], v[68:69], v[26:27]
	v_add_f64 v[26:27], v[72:73], v[36:37]
	v_add_f64 v[66:67], v[140:141], v[80:81]
	v_add_f64 v[36:37], v[74:75], v[46:47]
	v_add_f64 v[46:47], v[86:87], v[50:51]
	v_add_f64 v[0:1], v[88:89], v[0:1]
	v_add_f64 v[16:17], v[16:17], v[40:41]
	v_mul_u32_u24_e32 v40, 26, v161
	v_add_f64 v[18:19], v[18:19], v[22:23]
	v_add_f64 v[22:23], v[42:43], v[24:25]
	;; [unrolled: 1-line block ×3, first 2 shown]
	v_or_b32_e32 v40, v40, v160
	v_add_f64 v[26:27], v[66:67], v[36:37]
	v_add_f64 v[36:37], v[76:77], v[46:47]
	;; [unrolled: 1-line block ×3, first 2 shown]
	v_lshl_add_u32 v40, v40, 3, 0
	v_add_f64 v[16:17], v[16:17], v[48:49]
	ds_write2_b64 v40, v[64:65], v[62:63] offset0:16 offset1:18
	ds_write2_b64 v40, v[60:61], v[58:59] offset0:20 offset1:22
	;; [unrolled: 1-line block ×5, first 2 shown]
	ds_write2_b64 v40, v[16:17], v[18:19] offset1:2
	ds_write_b64 v40, v[56:57] offset:192
.LBB0_29:
	s_or_b32 exec_lo, exec_lo, s20
	s_waitcnt lgkmcnt(0)
	s_barrier
	buffer_gl0_inv
	ds_read_b64 v[0:1], v158
	ds_read_b64 v[42:43], v158 offset:2288
	ds_read_b64 v[26:27], v158 offset:4576
	;; [unrolled: 1-line block ×6, first 2 shown]
                                        ; implicit-def: $vgpr16_vgpr17
	s_and_saveexec_b32 s0, s1
	s_cbranch_execz .LBB0_31
; %bb.30:
	ds_read_b64 v[64:65], v158 offset:3744
	ds_read_b64 v[62:63], v158 offset:6032
	;; [unrolled: 1-line block ×5, first 2 shown]
	ds_read_b64 v[30:31], v159
	ds_read_b64 v[16:17], v158 offset:15184
.LBB0_31:
	s_or_b32 exec_lo, exec_lo, s0
	v_and_b32_e32 v18, 0xff, v153
	v_mov_b32_e32 v19, 6
	s_mov_b32 s4, 0x37e14327
	s_mov_b32 s10, 0xe976ee23
	;; [unrolled: 1-line block ×3, first 2 shown]
	v_mul_lo_u16 v18, 0x4f, v18
	s_mov_b32 s11, 0xbfe11646
	s_mov_b32 s6, 0x429ad128
	;; [unrolled: 1-line block ×4, first 2 shown]
	v_lshrrev_b16 v69, 11, v18
	s_mov_b32 s15, 0x3fac98ee
	s_mov_b32 s16, 0xaaaaaaaa
	;; [unrolled: 1-line block ×4, first 2 shown]
	v_mul_lo_u16 v18, v69, 26
	s_mov_b32 s18, 0x5476071b
	s_mov_b32 s23, 0x3fd5d0dc
	s_mov_b32 s19, 0x3fe77f67
	s_mov_b32 s21, 0xbfe77f67
	v_sub_nc_u16 v122, v153, v18
	s_mov_b32 s25, 0xbfd5d0dc
	s_mov_b32 s20, s18
	;; [unrolled: 1-line block ×4, first 2 shown]
	v_mul_u32_u24_sdwa v18, v122, v19 dst_sel:DWORD dst_unused:UNUSED_PAD src0_sel:BYTE_0 src1_sel:DWORD
	s_mov_b32 s27, 0x3fdc38aa
	v_lshlrev_b32_e32 v18, 4, v18
	s_clause 0x5
	global_load_dwordx4 v[72:75], v18, s[8:9] offset:384
	global_load_dwordx4 v[76:79], v18, s[8:9] offset:400
	;; [unrolled: 1-line block ×6, first 2 shown]
	v_mov_b32_e32 v18, 0x4ec5
	v_mul_u32_u24_sdwa v18, v157, v18 dst_sel:DWORD dst_unused:UNUSED_PAD src0_sel:WORD_0 src1_sel:DWORD
	v_lshrrev_b32_e32 v123, 19, v18
	v_mul_lo_u16 v18, v123, 26
	v_sub_nc_u16 v66, v157, v18
	v_mul_u32_u24_sdwa v18, v66, v19 dst_sel:DWORD dst_unused:UNUSED_PAD src0_sel:WORD_0 src1_sel:DWORD
	v_lshlrev_b32_e32 v18, 4, v18
	s_clause 0x5
	global_load_dwordx4 v[96:99], v18, s[8:9] offset:384
	global_load_dwordx4 v[100:103], v18, s[8:9] offset:400
	;; [unrolled: 1-line block ×6, first 2 shown]
	s_waitcnt vmcnt(0) lgkmcnt(0)
	s_barrier
	buffer_gl0_inv
	v_mul_f64 v[18:19], v[42:43], v[74:75]
	v_mul_f64 v[22:23], v[26:27], v[78:79]
	;; [unrolled: 1-line block ×12, first 2 shown]
	v_fma_f64 v[18:19], v[34:35], v[72:73], -v[18:19]
	v_fma_f64 v[24:25], v[38:39], v[76:77], -v[22:23]
	;; [unrolled: 1-line block ×4, first 2 shown]
	v_fma_f64 v[42:43], v[42:43], v[72:73], v[67:68]
	v_fma_f64 v[36:37], v[26:27], v[76:77], v[74:75]
	v_fma_f64 v[26:27], v[32:33], v[88:89], -v[78:79]
	v_fma_f64 v[32:33], v[40:41], v[88:89], v[90:91]
	v_fma_f64 v[28:29], v[28:29], v[92:93], -v[120:121]
	v_fma_f64 v[40:41], v[50:51], v[84:85], v[86:87]
	v_fma_f64 v[38:39], v[46:47], v[92:93], v[94:95]
	;; [unrolled: 1-line block ×3, first 2 shown]
	v_mul_f64 v[82:83], v[12:13], v[102:103]
	v_mul_f64 v[84:85], v[60:61], v[106:107]
	;; [unrolled: 1-line block ×8, first 2 shown]
	v_add_f64 v[46:47], v[18:19], v[22:23]
	v_add_f64 v[48:49], v[24:25], v[34:35]
	;; [unrolled: 1-line block ×3, first 2 shown]
	v_add_f64 v[50:51], v[36:37], -v[40:41]
	v_add_f64 v[54:55], v[38:39], -v[32:33]
	;; [unrolled: 1-line block ×3, first 2 shown]
	v_fma_f64 v[58:59], v[58:59], v[108:109], v[90:91]
	v_add_f64 v[72:73], v[48:49], v[46:47]
	v_add_f64 v[74:75], v[46:47], -v[52:53]
	v_add_f64 v[46:47], v[48:49], -v[46:47]
	;; [unrolled: 1-line block ×4, first 2 shown]
	v_add_f64 v[50:51], v[54:55], v[50:51]
	v_add_f64 v[54:55], v[67:68], -v[54:55]
	v_add_f64 v[72:73], v[52:53], v[72:73]
	v_add_f64 v[52:53], v[52:53], -v[48:49]
	v_mul_f64 v[74:75], v[74:75], s[4:5]
	v_mul_f64 v[76:77], v[76:77], s[10:11]
	;; [unrolled: 1-line block ×3, first 2 shown]
	v_add_f64 v[50:51], v[50:51], v[67:68]
	v_add_f64 v[20:21], v[20:21], v[72:73]
	v_mul_f64 v[48:49], v[52:53], s[14:15]
	v_fma_f64 v[52:53], v[52:53], s[14:15], v[74:75]
	v_fma_f64 v[74:75], v[46:47], s[20:21], -v[74:75]
	v_fma_f64 v[67:68], v[54:55], s[22:23], v[76:77]
	v_fma_f64 v[76:77], v[78:79], s[6:7], -v[76:77]
	v_fma_f64 v[54:55], v[54:55], s[24:25], -v[80:81]
	v_mul_f64 v[78:79], v[14:15], v[98:99]
	v_mul_f64 v[80:81], v[62:63], v[102:103]
	v_fma_f64 v[72:73], v[72:73], s[16:17], v[20:21]
	v_fma_f64 v[46:47], v[46:47], s[18:19], -v[48:49]
	v_mul_f64 v[48:49], v[64:65], v[98:99]
	v_mul_f64 v[98:99], v[16:17], v[118:119]
	v_fma_f64 v[16:17], v[16:17], v[116:117], v[110:111]
	v_fma_f64 v[67:68], v[50:51], s[26:27], v[67:68]
	;; [unrolled: 1-line block ×5, first 2 shown]
	v_fma_f64 v[12:13], v[12:13], v[100:101], -v[80:81]
	v_fma_f64 v[54:55], v[60:61], v[104:105], v[86:87]
	v_fma_f64 v[60:61], v[6:7], v[112:113], -v[92:93]
	v_add_f64 v[106:107], v[52:53], v[72:73]
	v_add_f64 v[74:75], v[74:75], v[72:73]
	;; [unrolled: 1-line block ×3, first 2 shown]
	v_fma_f64 v[14:15], v[14:15], v[96:97], -v[48:49]
	v_fma_f64 v[52:53], v[62:63], v[100:101], v[82:83]
	v_fma_f64 v[46:47], v[10:11], v[104:105], -v[84:85]
	v_fma_f64 v[48:49], v[8:9], v[108:109], -v[88:89]
	v_fma_f64 v[62:63], v[56:57], v[112:113], v[94:95]
	v_fma_f64 v[56:57], v[4:5], v[116:117], -v[98:99]
	v_mov_b32_e32 v11, 0x5b0
	v_mov_b32_e32 v4, 3
	v_mul_u32_u24_sdwa v11, v69, v11 dst_sel:DWORD dst_unused:UNUSED_PAD src0_sel:WORD_0 src1_sel:DWORD
	v_lshlrev_b32_sdwa v64, v4, v122 dst_sel:DWORD dst_unused:UNUSED_PAD src0_sel:DWORD src1_sel:BYTE_0
	v_add3_u32 v65, 0, v11, v64
	v_mul_lo_u16 v64, 0xb6, v123
	v_add_f64 v[5:6], v[67:68], v[106:107]
	v_add_f64 v[7:8], v[102:103], v[74:75]
	v_add_f64 v[9:10], v[72:73], -v[76:77]
	v_add_f64 v[72:73], v[76:77], v[72:73]
	v_add_f64 v[74:75], v[74:75], -v[102:103]
	v_add_f64 v[67:68], v[106:107], -v[67:68]
	ds_write2_b64 v65, v[20:21], v[5:6] offset1:26
	ds_write2_b64 v65, v[7:8], v[9:10] offset0:52 offset1:78
	ds_write2_b64 v65, v[72:73], v[74:75] offset0:104 offset1:130
	ds_write_b64 v65, v[67:68] offset:1248
	s_and_saveexec_b32 s0, s1
	s_cbranch_execz .LBB0_33
; %bb.32:
	v_add_f64 v[5:6], v[12:13], v[60:61]
	v_add_f64 v[7:8], v[14:15], v[56:57]
	v_add_f64 v[9:10], v[58:59], -v[54:55]
	v_add_f64 v[20:21], v[52:53], -v[62:63]
	v_add_f64 v[67:68], v[46:47], v[48:49]
	v_add_f64 v[72:73], v[50:51], -v[16:17]
	v_lshlrev_b32_sdwa v11, v4, v66 dst_sel:DWORD dst_unused:UNUSED_PAD src0_sel:DWORD src1_sel:WORD_0
	v_lshlrev_b32_sdwa v4, v4, v64 dst_sel:DWORD dst_unused:UNUSED_PAD src0_sel:DWORD src1_sel:WORD_0
	v_add3_u32 v4, 0, v11, v4
	v_add_f64 v[74:75], v[5:6], v[7:8]
	v_add_f64 v[76:77], v[9:10], -v[20:21]
	v_add_f64 v[78:79], v[7:8], -v[67:68]
	;; [unrolled: 1-line block ×3, first 2 shown]
	v_add_f64 v[20:21], v[9:10], v[20:21]
	v_add_f64 v[9:10], v[72:73], -v[9:10]
	v_add_f64 v[74:75], v[67:68], v[74:75]
	v_add_f64 v[67:68], v[67:68], -v[5:6]
	v_add_f64 v[5:6], v[5:6], -v[7:8]
	v_mul_f64 v[7:8], v[76:77], s[10:11]
	v_mul_f64 v[76:77], v[78:79], s[4:5]
	;; [unrolled: 1-line block ×3, first 2 shown]
	v_add_f64 v[20:21], v[20:21], v[72:73]
	v_add_f64 v[2:3], v[2:3], v[74:75]
	v_mul_f64 v[82:83], v[67:68], s[14:15]
	v_fma_f64 v[72:73], v[9:10], s[22:23], v[7:8]
	v_fma_f64 v[67:68], v[67:68], s[14:15], v[76:77]
	v_fma_f64 v[84:85], v[5:6], s[20:21], -v[76:77]
	v_fma_f64 v[9:10], v[9:10], s[24:25], -v[78:79]
	;; [unrolled: 1-line block ×3, first 2 shown]
	v_fma_f64 v[74:75], v[74:75], s[16:17], v[2:3]
	v_fma_f64 v[5:6], v[5:6], s[18:19], -v[82:83]
	v_fma_f64 v[72:73], v[20:21], s[26:27], v[72:73]
	v_fma_f64 v[9:10], v[20:21], s[26:27], v[9:10]
	;; [unrolled: 1-line block ×3, first 2 shown]
	v_add_f64 v[67:68], v[67:68], v[74:75]
	v_add_f64 v[20:21], v[84:85], v[74:75]
	;; [unrolled: 1-line block ×4, first 2 shown]
	v_add_f64 v[74:75], v[20:21], -v[9:10]
	v_add_f64 v[76:77], v[5:6], -v[7:8]
	v_add_f64 v[9:10], v[9:10], v[20:21]
	v_add_f64 v[5:6], v[7:8], v[5:6]
	v_add_f64 v[7:8], v[67:68], -v[72:73]
	ds_write2_b64 v4, v[2:3], v[78:79] offset1:26
	ds_write2_b64 v4, v[9:10], v[76:77] offset0:52 offset1:78
	ds_write2_b64 v4, v[5:6], v[74:75] offset0:104 offset1:130
	ds_write_b64 v4, v[7:8] offset:1248
.LBB0_33:
	s_or_b32 exec_lo, exec_lo, s0
	v_add_f64 v[2:3], v[42:43], v[44:45]
	v_add_f64 v[4:5], v[36:37], v[40:41]
	v_add_f64 v[6:7], v[24:25], -v[34:35]
	v_add_f64 v[8:9], v[32:33], v[38:39]
	v_add_f64 v[10:11], v[28:29], -v[26:27]
	v_add_f64 v[18:19], v[18:19], -v[22:23]
	v_lshl_add_u32 v34, v155, 3, 0
	v_add_nc_u32_e32 v45, 0x1c00, v158
	v_lshl_add_u32 v35, v154, 3, 0
	v_add_nc_u32_e32 v69, 0x2600, v158
	;; [unrolled: 2-line block ×3, first 2 shown]
	s_waitcnt lgkmcnt(0)
	s_barrier
	buffer_gl0_inv
	v_add_f64 v[20:21], v[4:5], v[2:3]
	v_add_f64 v[22:23], v[2:3], -v[8:9]
	v_add_f64 v[24:25], v[10:11], -v[6:7]
	;; [unrolled: 1-line block ×3, first 2 shown]
	v_add_f64 v[6:7], v[10:11], v[6:7]
	v_add_f64 v[10:11], v[18:19], -v[10:11]
	v_add_f64 v[20:21], v[8:9], v[20:21]
	v_add_f64 v[8:9], v[8:9], -v[4:5]
	v_mul_f64 v[22:23], v[22:23], s[4:5]
	v_mul_f64 v[24:25], v[24:25], s[10:11]
	;; [unrolled: 1-line block ×3, first 2 shown]
	v_add_f64 v[32:33], v[0:1], v[20:21]
	v_add_f64 v[0:1], v[4:5], -v[2:3]
	v_mul_f64 v[2:3], v[8:9], s[14:15]
	v_add_f64 v[4:5], v[6:7], v[18:19]
	v_fma_f64 v[6:7], v[8:9], s[14:15], v[22:23]
	v_fma_f64 v[8:9], v[10:11], s[22:23], v[24:25]
	v_fma_f64 v[18:19], v[26:27], s[6:7], -v[24:25]
	v_fma_f64 v[10:11], v[10:11], s[24:25], -v[28:29]
	v_fma_f64 v[20:21], v[20:21], s[16:17], v[32:33]
	v_fma_f64 v[22:23], v[0:1], s[20:21], -v[22:23]
	v_fma_f64 v[0:1], v[0:1], s[18:19], -v[2:3]
	v_fma_f64 v[2:3], v[4:5], s[26:27], v[8:9]
	v_fma_f64 v[8:9], v[4:5], s[26:27], v[18:19]
	;; [unrolled: 1-line block ×3, first 2 shown]
	v_add_f64 v[6:7], v[6:7], v[20:21]
	v_add_f64 v[10:11], v[22:23], v[20:21]
	;; [unrolled: 1-line block ×3, first 2 shown]
	ds_read_b64 v[22:23], v159
	ds_read_b64 v[20:21], v158
	;; [unrolled: 1-line block ×5, first 2 shown]
	v_add_f64 v[18:19], v[6:7], -v[2:3]
	v_add_f64 v[37:38], v[10:11], -v[4:5]
	v_add_f64 v[39:40], v[8:9], v[0:1]
	v_add_f64 v[41:42], v[0:1], -v[8:9]
	v_add_f64 v[43:44], v[4:5], v[10:11]
	v_add_f64 v[67:68], v[2:3], v[6:7]
	ds_read2_b64 v[8:11], v45 offset0:14 offset1:196
	ds_read2_b64 v[4:7], v69 offset0:58 offset1:240
	;; [unrolled: 1-line block ×3, first 2 shown]
	s_waitcnt lgkmcnt(0)
	s_barrier
	buffer_gl0_inv
	ds_write2_b64 v65, v[32:33], v[18:19] offset1:26
	ds_write2_b64 v65, v[37:38], v[39:40] offset0:52 offset1:78
	ds_write2_b64 v65, v[41:42], v[43:44] offset0:104 offset1:130
	ds_write_b64 v65, v[67:68] offset:1248
	s_and_saveexec_b32 s0, s1
	s_cbranch_execz .LBB0_35
; %bb.34:
	v_add_f64 v[16:17], v[50:51], v[16:17]
	v_add_f64 v[18:19], v[52:53], v[62:63]
	;; [unrolled: 1-line block ×3, first 2 shown]
	v_add_f64 v[12:13], v[12:13], -v[60:61]
	v_add_f64 v[37:38], v[48:49], -v[46:47]
	;; [unrolled: 1-line block ×3, first 2 shown]
	s_mov_b32 s6, 0x36b3c0b5
	s_mov_b32 s7, 0x3fac98ee
	;; [unrolled: 1-line block ×6, first 2 shown]
	v_add_f64 v[39:40], v[18:19], v[16:17]
	v_add_f64 v[41:42], v[16:17], -v[32:33]
	v_add_f64 v[43:44], v[32:33], -v[18:19]
	;; [unrolled: 1-line block ×5, first 2 shown]
	v_add_f64 v[12:13], v[37:38], v[12:13]
	v_add_f64 v[18:19], v[14:15], -v[37:38]
	v_add_f64 v[32:33], v[32:33], v[39:40]
	v_mul_f64 v[37:38], v[41:42], s[4:5]
	s_mov_b32 s4, 0x429ad128
	v_mul_f64 v[39:40], v[43:44], s[6:7]
	v_mul_f64 v[41:42], v[45:46], s[10:11]
	s_mov_b32 s5, 0x3febfeb5
	s_mov_b32 s10, 0xaaaaaaaa
	v_mul_f64 v[45:46], v[47:48], s[4:5]
	s_mov_b32 s11, 0xbff2aaaa
	v_add_f64 v[12:13], v[12:13], v[14:15]
	v_add_f64 v[30:31], v[30:31], v[32:33]
	v_fma_f64 v[14:15], v[43:44], s[6:7], v[37:38]
	v_fma_f64 v[39:40], v[16:17], s[14:15], -v[39:40]
	s_mov_b32 s15, 0xbfe77f67
	v_fma_f64 v[43:44], v[18:19], s[16:17], v[41:42]
	s_mov_b32 s17, 0xbfd5d0dc
	v_fma_f64 v[41:42], v[47:48], s[4:5], -v[41:42]
	v_fma_f64 v[18:19], v[18:19], s[16:17], -v[45:46]
	;; [unrolled: 1-line block ×3, first 2 shown]
	s_mov_b32 s4, 0x37c3f68c
	s_mov_b32 s5, 0x3fdc38aa
	v_fma_f64 v[32:33], v[32:33], s[10:11], v[30:31]
	v_fma_f64 v[37:38], v[12:13], s[4:5], v[43:44]
	;; [unrolled: 1-line block ×4, first 2 shown]
	v_add_f64 v[14:15], v[14:15], v[32:33]
	v_add_f64 v[16:17], v[16:17], v[32:33]
	;; [unrolled: 1-line block ×3, first 2 shown]
	v_add_f64 v[32:33], v[14:15], -v[37:38]
	v_add_f64 v[39:40], v[16:17], -v[12:13]
	v_add_f64 v[43:44], v[41:42], v[18:19]
	v_add_f64 v[18:19], v[18:19], -v[41:42]
	v_add_f64 v[12:13], v[12:13], v[16:17]
	v_add_f64 v[14:15], v[37:38], v[14:15]
	v_mov_b32_e32 v16, 3
	v_lshlrev_b32_sdwa v17, v16, v66 dst_sel:DWORD dst_unused:UNUSED_PAD src0_sel:DWORD src1_sel:WORD_0
	v_lshlrev_b32_sdwa v16, v16, v64 dst_sel:DWORD dst_unused:UNUSED_PAD src0_sel:DWORD src1_sel:WORD_0
	v_add3_u32 v16, 0, v17, v16
	ds_write2_b64 v16, v[30:31], v[32:33] offset1:26
	ds_write2_b64 v16, v[39:40], v[43:44] offset0:52 offset1:78
	ds_write2_b64 v16, v[18:19], v[12:13] offset0:104 offset1:130
	ds_write_b64 v16, v[14:15] offset:1248
.LBB0_35:
	s_or_b32 exec_lo, exec_lo, s0
	s_waitcnt lgkmcnt(0)
	s_barrier
	buffer_gl0_inv
	s_and_saveexec_b32 s0, vcc_lo
	s_cbranch_execz .LBB0_37
; %bb.36:
	v_mul_u32_u24_e32 v12, 10, v153
	v_add_nc_u32_e32 v39, 0x1c00, v158
	s_mov_b32 s4, 0x8764f0ba
	s_mov_b32 s5, 0x3feaeb8c
	;; [unrolled: 1-line block ×3, first 2 shown]
	v_lshlrev_b32_e32 v12, 4, v12
	ds_read2_b64 v[39:42], v39 offset0:14 offset1:196
	s_mov_b32 s7, 0xbfe14ced
	s_mov_b32 s23, 0xbfd207e7
	s_mov_b32 s21, 0x3fe14ced
	v_add_co_u32 v37, s0, s8, v12
	v_add_co_ci_u32_e64 v38, null, s9, 0, s0
	s_mov_b32 s0, 0x9bcd5057
	v_add_co_u32 v30, vcc_lo, 0x800, v37
	v_add_co_ci_u32_e32 v31, vcc_lo, 0, v38, vcc_lo
	v_add_co_u32 v32, vcc_lo, 0xb80, v37
	v_add_co_ci_u32_e32 v33, vcc_lo, 0, v38, vcc_lo
	s_clause 0x4
	global_load_dwordx4 v[12:15], v[30:31], off offset:896
	global_load_dwordx4 v[56:59], v[30:31], off offset:832
	;; [unrolled: 1-line block ×5, first 2 shown]
	s_mov_b32 s1, 0xbfeeb42a
	s_mov_b32 s20, s6
	;; [unrolled: 1-line block ×20, first 2 shown]
	s_waitcnt vmcnt(4)
	v_mul_f64 v[52:53], v[8:9], v[14:15]
	s_waitcnt lgkmcnt(0)
	v_mul_f64 v[54:55], v[39:40], v[14:15]
	v_fma_f64 v[14:15], v[39:40], v[12:13], v[52:53]
	v_fma_f64 v[8:9], v[8:9], v[12:13], -v[54:55]
	global_load_dwordx4 v[52:55], v[32:33], off offset:48
	s_waitcnt vmcnt(2)
	v_mul_f64 v[12:13], v[10:11], v[18:19]
	v_mul_f64 v[18:19], v[41:42], v[18:19]
	v_add_nc_u32_e32 v32, 0x2600, v158
	ds_read2_b64 v[30:33], v32 offset0:58 offset1:240
	v_fma_f64 v[12:13], v[41:42], v[16:17], v[12:13]
	v_fma_f64 v[10:11], v[10:11], v[16:17], -v[18:19]
	s_waitcnt vmcnt(1)
	v_mul_f64 v[16:17], v[4:5], v[50:51]
	v_add_f64 v[60:61], v[8:9], v[10:11]
	s_waitcnt lgkmcnt(0)
	v_fma_f64 v[18:19], v[30:31], v[48:49], v[16:17]
	v_mul_f64 v[30:31], v[30:31], v[50:51]
	v_fma_f64 v[30:31], v[4:5], v[48:49], -v[30:31]
	v_add_co_u32 v4, vcc_lo, 0xb40, v37
	v_add_co_ci_u32_e32 v5, vcc_lo, 0, v38, vcc_lo
	s_waitcnt vmcnt(0)
	v_mul_f64 v[39:40], v[6:7], v[54:55]
	v_fma_f64 v[16:17], v[32:33], v[52:53], v[39:40]
	global_load_dwordx4 v[39:42], v[4:5], off offset:48
	v_mul_f64 v[32:33], v[32:33], v[54:55]
	v_fma_f64 v[6:7], v[6:7], v[52:53], -v[32:33]
	v_add_co_u32 v32, vcc_lo, 0xbc0, v37
	v_add_co_ci_u32_e32 v33, vcc_lo, 0, v38, vcc_lo
	v_add_co_u32 v110, vcc_lo, s12, v70
	v_add_co_ci_u32_e32 v111, vcc_lo, s13, v71, vcc_lo
	global_load_dwordx4 v[48:51], v[32:33], off offset:16
	ds_read_b64 v[36:37], v36
	ds_read_b64 v[52:53], v35
	s_mov_b32 s12, 0xfd768dbf
	s_mov_b32 s13, 0x3fd207e7
	;; [unrolled: 1-line block ×3, first 2 shown]
	s_waitcnt vmcnt(1)
	v_mul_f64 v[32:33], v[28:29], v[41:42]
	s_waitcnt lgkmcnt(1)
	v_fma_f64 v[32:33], v[36:37], v[39:40], v[32:33]
	v_mul_f64 v[35:36], v[36:37], v[41:42]
	v_fma_f64 v[28:29], v[28:29], v[39:40], -v[35:36]
	s_clause 0x1
	global_load_dwordx4 v[36:39], v[4:5], off offset:32
	global_load_dwordx4 v[40:43], v[4:5], off offset:16
	ds_read_b64 v[54:55], v34
	s_waitcnt vmcnt(1)
	v_mul_f64 v[4:5], v[26:27], v[38:39]
	s_waitcnt lgkmcnt(1)
	v_fma_f64 v[34:35], v[52:53], v[36:37], v[4:5]
	v_mul_f64 v[4:5], v[52:53], v[38:39]
	s_waitcnt vmcnt(0) lgkmcnt(0)
	v_mul_f64 v[38:39], v[54:55], v[42:43]
	v_add_nc_u32_e32 v52, 0x3200, v158
	v_add_f64 v[62:63], v[34:35], v[16:17]
	v_fma_f64 v[36:37], v[26:27], v[36:37], -v[4:5]
	v_mul_f64 v[26:27], v[24:25], v[42:43]
	ds_read_b64 v[4:5], v158
	v_fma_f64 v[24:25], v[24:25], v[40:41], -v[38:39]
	ds_read_b64 v[38:39], v159
	v_add_f64 v[64:65], v[36:37], -v[6:7]
	v_fma_f64 v[26:27], v[54:55], v[40:41], v[26:27]
	v_mul_f64 v[40:41], v[22:23], v[58:59]
	s_waitcnt lgkmcnt(0)
	v_mul_f64 v[42:43], v[38:39], v[58:59]
	ds_read2_b64 v[52:55], v52 offset0:38 offset1:220
	v_add_f64 v[58:59], v[8:9], -v[10:11]
	v_fma_f64 v[40:41], v[38:39], v[56:57], v[40:41]
	v_mul_f64 v[38:39], v[0:1], v[46:47]
	v_fma_f64 v[22:23], v[22:23], v[56:57], -v[42:43]
	s_waitcnt lgkmcnt(0)
	v_mul_f64 v[46:47], v[52:53], v[46:47]
	v_mul_f64 v[42:43], v[2:3], v[50:51]
	;; [unrolled: 1-line block ×3, first 2 shown]
	v_add_f64 v[56:57], v[14:15], -v[12:13]
	v_fma_f64 v[38:39], v[52:53], v[44:45], v[38:39]
	v_fma_f64 v[0:1], v[0:1], v[44:45], -v[46:47]
	v_add_f64 v[44:45], v[4:5], v[40:41]
	v_add_f64 v[46:47], v[20:21], v[22:23]
	v_fma_f64 v[42:43], v[54:55], v[48:49], v[42:43]
	v_fma_f64 v[2:3], v[2:3], v[48:49], -v[50:51]
	v_mad_u64_u32 v[50:51], null, s2, v152, 0
	v_mul_f64 v[76:77], v[56:57], s[18:19]
	v_mul_f64 v[86:87], v[56:57], s[22:23]
	;; [unrolled: 1-line block ×3, first 2 shown]
	v_add_f64 v[66:67], v[24:25], -v[0:1]
	v_add_f64 v[44:45], v[26:27], v[44:45]
	v_add_f64 v[46:47], v[24:25], v[46:47]
	v_add_f64 v[68:69], v[24:25], v[0:1]
	v_add_f64 v[54:55], v[22:23], -v[2:3]
	v_add_f64 v[44:45], v[34:35], v[44:45]
	v_add_f64 v[46:47], v[36:37], v[46:47]
	;; [unrolled: 1-line block ×3, first 2 shown]
	v_add_f64 v[34:35], v[34:35], -v[16:17]
	v_add_f64 v[44:45], v[32:33], v[44:45]
	v_add_f64 v[46:47], v[28:29], v[46:47]
	v_mul_f64 v[78:79], v[34:35], s[26:27]
	v_add_f64 v[44:45], v[14:15], v[44:45]
	v_add_f64 v[46:47], v[8:9], v[46:47]
	;; [unrolled: 1-line block ×10, first 2 shown]
	v_mov_b32_e32 v46, v51
	v_mad_u64_u32 v[51:52], null, s3, v152, v[46:47]
	v_add_f64 v[52:53], v[26:27], v[38:39]
	v_add_f64 v[38:39], v[26:27], -v[38:39]
	v_lshlrev_b64 v[50:51], 4, v[50:51]
	v_add_co_u32 v50, vcc_lo, v110, v50
	v_add_f64 v[46:47], v[42:43], v[44:45]
	v_add_f64 v[44:45], v[2:3], v[48:49]
	;; [unrolled: 1-line block ×3, first 2 shown]
	v_add_co_ci_u32_e32 v51, vcc_lo, v111, v51, vcc_lo
	v_add_f64 v[40:41], v[40:41], -v[42:43]
	v_add_f64 v[42:43], v[22:23], v[2:3]
	v_mul_f64 v[6:7], v[52:53], s[4:5]
	v_mul_f64 v[90:91], v[52:53], s[8:9]
	;; [unrolled: 1-line block ×3, first 2 shown]
	global_store_dwordx4 v[50:51], v[44:47], off
	v_mul_f64 v[44:45], v[48:49], s[0:1]
	v_add_f64 v[46:47], v[14:15], v[12:13]
	v_add_f64 v[50:51], v[32:33], v[18:19]
	v_mul_f64 v[10:11], v[40:41], s[22:23]
	v_add_f64 v[18:19], v[32:33], -v[18:19]
	v_add_f64 v[32:33], v[28:29], -v[30:31]
	v_fma_f64 v[2:3], v[66:67], s[6:7], v[6:7]
	v_add_f64 v[30:31], v[28:29], v[30:31]
	v_fma_f64 v[6:7], v[66:67], s[20:21], v[6:7]
	v_mul_f64 v[88:89], v[48:49], s[16:17]
	v_mul_f64 v[92:93], v[40:41], s[30:31]
	v_fma_f64 v[96:97], v[68:69], s[8:9], -v[94:95]
	v_fma_f64 v[94:95], v[68:69], s[8:9], v[94:95]
	v_fma_f64 v[8:9], v[54:55], s[12:13], v[44:45]
	v_mul_f64 v[74:75], v[46:47], s[16:17]
	v_mul_f64 v[80:81], v[50:51], s[8:9]
	v_fma_f64 v[0:1], v[42:43], s[0:1], v[10:11]
	v_fma_f64 v[10:11], v[42:43], s[0:1], -v[10:11]
	v_mul_f64 v[82:83], v[18:19], s[10:11]
	v_mul_f64 v[84:85], v[46:47], s[0:1]
	;; [unrolled: 1-line block ×3, first 2 shown]
	v_add_f64 v[8:9], v[4:5], v[8:9]
	v_add_f64 v[0:1], v[20:21], v[0:1]
	;; [unrolled: 1-line block ×4, first 2 shown]
	v_mul_f64 v[8:9], v[38:39], s[20:21]
	v_fma_f64 v[12:13], v[68:69], s[4:5], v[8:9]
	v_fma_f64 v[8:9], v[68:69], s[4:5], -v[8:9]
	v_add_f64 v[0:1], v[12:13], v[0:1]
	v_mul_f64 v[12:13], v[62:63], s[8:9]
	v_add_f64 v[8:9], v[8:9], v[10:11]
	v_fma_f64 v[14:15], v[64:65], s[24:25], v[12:13]
	v_fma_f64 v[10:11], v[64:65], s[10:11], v[12:13]
	v_add_f64 v[2:3], v[14:15], v[2:3]
	v_mul_f64 v[14:15], v[34:35], s[10:11]
	v_fma_f64 v[16:17], v[36:37], s[8:9], v[14:15]
	v_add_f64 v[0:1], v[16:17], v[0:1]
	v_mul_f64 v[16:17], v[50:51], s[16:17]
	;; [unrolled: 3-line block ×4, first 2 shown]
	v_mul_f64 v[46:47], v[46:47], s[8:9]
	v_fma_f64 v[26:27], v[58:59], s[28:29], v[24:25]
	v_add_f64 v[2:3], v[26:27], v[2:3]
	v_mul_f64 v[26:27], v[56:57], s[26:27]
	v_fma_f64 v[28:29], v[60:61], s[14:15], v[26:27]
	v_fma_f64 v[12:13], v[60:61], s[14:15], -v[26:27]
	v_add_f64 v[0:1], v[28:29], v[0:1]
	v_fma_f64 v[28:29], v[54:55], s[22:23], v[44:45]
	v_add_f64 v[28:29], v[4:5], v[28:29]
	v_add_f64 v[6:7], v[6:7], v[28:29]
	;; [unrolled: 1-line block ×3, first 2 shown]
	v_fma_f64 v[10:11], v[36:37], s[8:9], -v[14:15]
	v_mul_f64 v[14:15], v[48:49], s[8:9]
	v_add_f64 v[8:9], v[10:11], v[8:9]
	v_fma_f64 v[10:11], v[32:33], s[18:19], v[16:17]
	v_mul_f64 v[16:17], v[52:53], s[14:15]
	v_add_f64 v[6:7], v[10:11], v[6:7]
	v_fma_f64 v[10:11], v[30:31], s[16:17], -v[22:23]
	v_mul_f64 v[22:23], v[40:41], s[10:11]
	v_add_f64 v[10:11], v[10:11], v[8:9]
	v_fma_f64 v[8:9], v[58:59], s[26:27], v[24:25]
	v_mul_f64 v[24:25], v[38:39], s[28:29]
	v_add_f64 v[8:9], v[8:9], v[6:7]
	v_add_f64 v[6:7], v[12:13], v[10:11]
	v_fma_f64 v[10:11], v[54:55], s[24:25], v[14:15]
	v_fma_f64 v[12:13], v[66:67], s[26:27], v[16:17]
	;; [unrolled: 1-line block ×5, first 2 shown]
	v_add_f64 v[10:11], v[4:5], v[10:11]
	v_add_f64 v[14:15], v[4:5], v[14:15]
	;; [unrolled: 1-line block ×3, first 2 shown]
	v_fma_f64 v[12:13], v[42:43], s[8:9], v[22:23]
	v_add_f64 v[14:15], v[16:17], v[14:15]
	v_fma_f64 v[16:17], v[42:43], s[8:9], -v[22:23]
	v_fma_f64 v[22:23], v[68:69], s[14:15], -v[24:25]
	;; [unrolled: 1-line block ×3, first 2 shown]
	v_add_f64 v[12:13], v[20:21], v[12:13]
	v_add_f64 v[16:17], v[20:21], v[16:17]
	;; [unrolled: 1-line block ×3, first 2 shown]
	v_mul_f64 v[26:27], v[62:63], s[4:5]
	v_add_f64 v[16:17], v[22:23], v[16:17]
	v_fma_f64 v[28:29], v[64:65], s[20:21], v[26:27]
	v_fma_f64 v[22:23], v[64:65], s[6:7], v[26:27]
	v_add_f64 v[10:11], v[28:29], v[10:11]
	v_mul_f64 v[28:29], v[34:35], s[6:7]
	v_add_f64 v[14:15], v[22:23], v[14:15]
	v_fma_f64 v[44:45], v[36:37], s[4:5], v[28:29]
	v_fma_f64 v[22:23], v[36:37], s[4:5], -v[28:29]
	v_fma_f64 v[28:29], v[66:67], s[10:11], v[90:91]
	v_fma_f64 v[90:91], v[66:67], s[24:25], v[90:91]
	v_add_f64 v[12:13], v[44:45], v[12:13]
	v_mul_f64 v[44:45], v[50:51], s[0:1]
	v_add_f64 v[16:17], v[22:23], v[16:17]
	v_fma_f64 v[70:71], v[32:33], s[12:13], v[44:45]
	v_fma_f64 v[22:23], v[32:33], s[22:23], v[44:45]
	v_mul_f64 v[44:45], v[48:49], s[4:5]
	v_mul_f64 v[48:49], v[48:49], s[14:15]
	v_add_f64 v[10:11], v[70:71], v[10:11]
	v_mul_f64 v[70:71], v[18:19], s[22:23]
	v_add_f64 v[14:15], v[22:23], v[14:15]
	v_fma_f64 v[72:73], v[30:31], s[0:1], v[70:71]
	v_fma_f64 v[22:23], v[30:31], s[0:1], -v[70:71]
	v_mul_f64 v[70:71], v[52:53], s[16:17]
	v_mul_f64 v[52:53], v[52:53], s[0:1]
	v_add_f64 v[72:73], v[72:73], v[12:13]
	v_fma_f64 v[12:13], v[58:59], s[30:31], v[74:75]
	v_add_f64 v[22:23], v[22:23], v[16:17]
	v_fma_f64 v[16:17], v[58:59], s[18:19], v[74:75]
	v_mul_f64 v[74:75], v[38:39], s[30:31]
	v_mul_f64 v[38:39], v[38:39], s[12:13]
	v_add_f64 v[12:13], v[12:13], v[10:11]
	v_fma_f64 v[10:11], v[60:61], s[16:17], v[76:77]
	v_add_f64 v[16:17], v[16:17], v[14:15]
	v_add_f64 v[14:15], v[24:25], v[22:23]
	v_fma_f64 v[22:23], v[54:55], s[6:7], v[44:45]
	v_fma_f64 v[24:25], v[66:67], s[30:31], v[70:71]
	v_fma_f64 v[26:27], v[68:69], s[16:17], -v[74:75]
	v_mul_f64 v[76:77], v[62:63], s[14:15]
	v_fma_f64 v[44:45], v[54:55], s[20:21], v[44:45]
	v_add_f64 v[10:11], v[10:11], v[72:73]
	v_mul_f64 v[72:73], v[40:41], s[6:7]
	v_mul_f64 v[40:41], v[40:41], s[26:27]
	v_add_f64 v[22:23], v[4:5], v[22:23]
	v_add_f64 v[22:23], v[24:25], v[22:23]
	v_fma_f64 v[24:25], v[42:43], s[4:5], -v[72:73]
	v_add_f64 v[24:25], v[20:21], v[24:25]
	v_add_f64 v[24:25], v[26:27], v[24:25]
	v_fma_f64 v[26:27], v[64:65], s[26:27], v[76:77]
	v_add_f64 v[22:23], v[26:27], v[22:23]
	v_fma_f64 v[26:27], v[36:37], s[14:15], -v[78:79]
	v_add_f64 v[24:25], v[26:27], v[24:25]
	v_fma_f64 v[26:27], v[32:33], s[10:11], v[80:81]
	v_add_f64 v[22:23], v[26:27], v[22:23]
	v_fma_f64 v[26:27], v[30:31], s[8:9], -v[82:83]
	;; [unrolled: 4-line block ×3, first 2 shown]
	v_add_f64 v[22:23], v[22:23], v[26:27]
	v_fma_f64 v[26:27], v[54:55], s[30:31], v[88:89]
	v_fma_f64 v[88:89], v[54:55], s[18:19], v[88:89]
	v_add_f64 v[26:27], v[4:5], v[26:27]
	v_add_f64 v[26:27], v[28:29], v[26:27]
	v_fma_f64 v[28:29], v[42:43], s[16:17], -v[92:93]
	v_fma_f64 v[92:93], v[42:43], s[16:17], v[92:93]
	v_add_f64 v[28:29], v[20:21], v[28:29]
	v_add_f64 v[28:29], v[96:97], v[28:29]
	v_mul_f64 v[96:97], v[62:63], s[0:1]
	v_mul_f64 v[62:63], v[62:63], s[16:17]
	v_fma_f64 v[98:99], v[64:65], s[12:13], v[96:97]
	v_fma_f64 v[96:97], v[64:65], s[22:23], v[96:97]
	v_add_f64 v[26:27], v[98:99], v[26:27]
	v_mul_f64 v[98:99], v[34:35], s[12:13]
	v_mul_f64 v[34:35], v[34:35], s[18:19]
	v_fma_f64 v[100:101], v[36:37], s[0:1], -v[98:99]
	v_add_f64 v[28:29], v[100:101], v[28:29]
	v_mul_f64 v[100:101], v[50:51], s[14:15]
	v_mul_f64 v[50:51], v[50:51], s[4:5]
	v_fma_f64 v[102:103], v[32:33], s[28:29], v[100:101]
	v_fma_f64 v[100:101], v[32:33], s[26:27], v[100:101]
	v_add_f64 v[26:27], v[102:103], v[26:27]
	v_mul_f64 v[102:103], v[18:19], s[28:29]
	v_mul_f64 v[18:19], v[18:19], s[6:7]
	v_fma_f64 v[104:105], v[30:31], s[14:15], -v[102:103]
	v_add_f64 v[104:105], v[104:105], v[28:29]
	v_fma_f64 v[28:29], v[58:59], s[20:21], v[106:107]
	v_fma_f64 v[106:107], v[58:59], s[6:7], v[106:107]
	v_add_f64 v[28:29], v[28:29], v[26:27]
	v_fma_f64 v[26:27], v[60:61], s[4:5], -v[108:109]
	v_add_f64 v[26:27], v[26:27], v[104:105]
	v_fma_f64 v[104:105], v[58:59], s[24:25], v[46:47]
	v_fma_f64 v[46:47], v[58:59], s[10:11], v[46:47]
	;; [unrolled: 1-line block ×15, first 2 shown]
	v_fma_f64 v[38:39], v[68:69], s[0:1], -v[38:39]
	v_fma_f64 v[68:69], v[68:69], s[16:17], v[74:75]
	v_fma_f64 v[74:75], v[42:43], s[14:15], v[40:41]
	v_fma_f64 v[40:41], v[42:43], s[14:15], -v[40:41]
	v_fma_f64 v[42:43], v[42:43], s[4:5], v[72:73]
	v_add_f64 v[72:73], v[4:5], v[88:89]
	v_add_f64 v[70:71], v[4:5], v[70:71]
	;; [unrolled: 1-line block ×10, first 2 shown]
	v_fma_f64 v[70:71], v[36:37], s[0:1], v[98:99]
	v_add_f64 v[4:5], v[66:67], v[4:5]
	v_add_f64 v[44:45], v[54:55], v[44:45]
	;; [unrolled: 1-line block ×3, first 2 shown]
	v_fma_f64 v[54:55], v[36:37], s[16:17], -v[34:35]
	v_fma_f64 v[34:35], v[36:37], s[16:17], v[34:35]
	v_add_f64 v[38:39], v[38:39], v[40:41]
	v_add_f64 v[40:41], v[90:91], v[72:73]
	v_fma_f64 v[36:37], v[36:37], s[14:15], v[78:79]
	v_add_f64 v[20:21], v[68:69], v[20:21]
	v_add_f64 v[42:43], v[80:81], v[42:43]
	;; [unrolled: 1-line block ×6, first 2 shown]
	v_fma_f64 v[52:53], v[30:31], s[4:5], -v[18:19]
	v_fma_f64 v[18:19], v[30:31], s[4:5], v[18:19]
	v_add_f64 v[38:39], v[54:55], v[38:39]
	v_fma_f64 v[54:55], v[30:31], s[14:15], v[102:103]
	v_add_f64 v[40:41], v[96:97], v[40:41]
	v_add_f64 v[20:21], v[36:37], v[20:21]
	v_fma_f64 v[30:31], v[30:31], s[8:9], v[82:83]
	v_add_f64 v[42:43], v[84:85], v[42:43]
	v_add_f64 v[36:37], v[50:51], v[48:49]
	v_add_f64 v[4:5], v[32:33], v[4:5]
	v_add_f64 v[34:35], v[18:19], v[34:35]
	v_mul_f64 v[18:19], v[56:57], s[10:11]
	v_add_f64 v[38:39], v[52:53], v[38:39]
	v_add_f64 v[44:45], v[54:55], v[44:45]
	v_fma_f64 v[52:53], v[60:61], s[4:5], v[108:109]
	v_add_f64 v[40:41], v[100:101], v[40:41]
	v_fma_f64 v[54:55], v[60:61], s[0:1], v[86:87]
	v_add_f64 v[56:57], v[30:31], v[20:21]
	v_add_f64 v[32:33], v[104:105], v[42:43]
	;; [unrolled: 1-line block ×3, first 2 shown]
	v_fma_f64 v[48:49], v[60:61], s[8:9], -v[18:19]
	v_fma_f64 v[50:51], v[60:61], s[8:9], v[18:19]
	v_add_nc_u32_e32 v60, 0xb6, v152
	v_add_nc_u32_e32 v61, 0x222, v152
	v_add_f64 v[36:37], v[106:107], v[40:41]
	v_add_f64 v[40:41], v[58:59], v[4:5]
	v_add_nc_u32_e32 v59, 0x666, v152
	v_mad_u64_u32 v[46:47], null, s2, v60, 0
	v_add_f64 v[18:19], v[48:49], v[38:39]
	v_add_nc_u32_e32 v49, 0x16c, v152
	v_add_f64 v[30:31], v[50:51], v[34:35]
	v_add_nc_u32_e32 v51, 0x2d8, v152
	v_add_f64 v[34:35], v[52:53], v[44:45]
	v_mad_u64_u32 v[44:45], null, s2, v61, 0
	v_mad_u64_u32 v[42:43], null, s2, v49, 0
	;; [unrolled: 1-line block ×4, first 2 shown]
	v_add_f64 v[38:39], v[54:55], v[56:57]
	v_add_nc_u32_e32 v55, 0x4fa, v152
	v_mad_u64_u32 v[48:49], null, s3, v49, v[43:44]
	v_mad_u64_u32 v[49:50], null, s3, v61, v[45:46]
	v_add_nc_u32_e32 v45, 0x38e, v152
	v_mad_u64_u32 v[50:51], null, s3, v51, v[5:6]
	v_add_nc_u32_e32 v57, 0x5b0, v152
	v_mov_b32_e32 v43, v48
	v_mad_u64_u32 v[51:52], null, s2, v45, 0
	v_add_nc_u32_e32 v61, 0x71c, v152
	v_lshlrev_b64 v[46:47], 4, v[46:47]
	v_lshlrev_b64 v[42:43], 4, v[42:43]
	v_mov_b32_e32 v5, v52
	v_add_co_u32 v46, vcc_lo, v110, v46
	v_add_co_ci_u32_e32 v47, vcc_lo, v111, v47, vcc_lo
	v_mad_u64_u32 v[52:53], null, s3, v45, v[5:6]
	v_add_nc_u32_e32 v53, 0x444, v152
	v_mov_b32_e32 v45, v49
	v_mov_b32_e32 v5, v50
	v_add_co_u32 v42, vcc_lo, v110, v42
	v_mad_u64_u32 v[48:49], null, s2, v53, 0
	v_lshlrev_b64 v[44:45], 4, v[44:45]
	v_lshlrev_b64 v[4:5], 4, v[4:5]
	v_add_co_ci_u32_e32 v43, vcc_lo, v111, v43, vcc_lo
	v_mad_u64_u32 v[49:50], null, s3, v53, v[49:50]
	v_mad_u64_u32 v[53:54], null, s2, v55, 0
	v_add_co_u32 v44, vcc_lo, v110, v44
	v_add_co_ci_u32_e32 v45, vcc_lo, v111, v45, vcc_lo
	v_add_co_u32 v4, vcc_lo, v110, v4
	v_mov_b32_e32 v50, v54
	v_lshlrev_b64 v[48:49], 4, v[48:49]
	v_add_co_ci_u32_e32 v5, vcc_lo, v111, v5, vcc_lo
	v_mad_u64_u32 v[54:55], null, s3, v55, v[50:51]
	v_mad_u64_u32 v[55:56], null, s2, v57, 0
	v_mov_b32_e32 v50, v56
	v_mad_u64_u32 v[56:57], null, s3, v57, v[50:51]
	v_mad_u64_u32 v[57:58], null, s2, v59, 0
	v_mov_b32_e32 v50, v58
	;; [unrolled: 3-line block ×3, first 2 shown]
	v_mad_u64_u32 v[60:61], null, s3, v61, v[50:51]
	v_lshlrev_b64 v[50:51], 4, v[51:52]
	v_lshlrev_b64 v[52:53], 4, v[53:54]
	;; [unrolled: 1-line block ×4, first 2 shown]
	v_add_co_u32 v50, vcc_lo, v110, v50
	v_add_co_ci_u32_e32 v51, vcc_lo, v111, v51, vcc_lo
	v_add_co_u32 v48, vcc_lo, v110, v48
	v_add_co_ci_u32_e32 v49, vcc_lo, v111, v49, vcc_lo
	;; [unrolled: 2-line block ×3, first 2 shown]
	v_add_co_u32 v54, vcc_lo, v110, v54
	v_lshlrev_b64 v[58:59], 4, v[59:60]
	v_add_co_ci_u32_e32 v55, vcc_lo, v111, v55, vcc_lo
	v_add_co_u32 v56, vcc_lo, v110, v56
	v_add_co_ci_u32_e32 v57, vcc_lo, v111, v57, vcc_lo
	v_add_co_u32 v58, vcc_lo, v110, v58
	v_add_co_ci_u32_e32 v59, vcc_lo, v111, v59, vcc_lo
	global_store_dwordx4 v[46:47], v[22:25], off
	global_store_dwordx4 v[42:43], v[26:29], off
	;; [unrolled: 1-line block ×10, first 2 shown]
.LBB0_37:
	s_endpgm
	.section	.rodata,"a",@progbits
	.p2align	6, 0x0
	.amdhsa_kernel fft_rtc_fwd_len2002_factors_2_13_7_11_wgs_182_tpt_182_halfLds_dp_ip_CI_sbrr_dirReg
		.amdhsa_group_segment_fixed_size 0
		.amdhsa_private_segment_fixed_size 0
		.amdhsa_kernarg_size 88
		.amdhsa_user_sgpr_count 6
		.amdhsa_user_sgpr_private_segment_buffer 1
		.amdhsa_user_sgpr_dispatch_ptr 0
		.amdhsa_user_sgpr_queue_ptr 0
		.amdhsa_user_sgpr_kernarg_segment_ptr 1
		.amdhsa_user_sgpr_dispatch_id 0
		.amdhsa_user_sgpr_flat_scratch_init 0
		.amdhsa_user_sgpr_private_segment_size 0
		.amdhsa_wavefront_size32 1
		.amdhsa_uses_dynamic_stack 0
		.amdhsa_system_sgpr_private_segment_wavefront_offset 0
		.amdhsa_system_sgpr_workgroup_id_x 1
		.amdhsa_system_sgpr_workgroup_id_y 0
		.amdhsa_system_sgpr_workgroup_id_z 0
		.amdhsa_system_sgpr_workgroup_info 0
		.amdhsa_system_vgpr_workitem_id 0
		.amdhsa_next_free_vgpr 186
		.amdhsa_next_free_sgpr 44
		.amdhsa_reserve_vcc 1
		.amdhsa_reserve_flat_scratch 0
		.amdhsa_float_round_mode_32 0
		.amdhsa_float_round_mode_16_64 0
		.amdhsa_float_denorm_mode_32 3
		.amdhsa_float_denorm_mode_16_64 3
		.amdhsa_dx10_clamp 1
		.amdhsa_ieee_mode 1
		.amdhsa_fp16_overflow 0
		.amdhsa_workgroup_processor_mode 1
		.amdhsa_memory_ordered 1
		.amdhsa_forward_progress 0
		.amdhsa_shared_vgpr_count 0
		.amdhsa_exception_fp_ieee_invalid_op 0
		.amdhsa_exception_fp_denorm_src 0
		.amdhsa_exception_fp_ieee_div_zero 0
		.amdhsa_exception_fp_ieee_overflow 0
		.amdhsa_exception_fp_ieee_underflow 0
		.amdhsa_exception_fp_ieee_inexact 0
		.amdhsa_exception_int_div_zero 0
	.end_amdhsa_kernel
	.text
.Lfunc_end0:
	.size	fft_rtc_fwd_len2002_factors_2_13_7_11_wgs_182_tpt_182_halfLds_dp_ip_CI_sbrr_dirReg, .Lfunc_end0-fft_rtc_fwd_len2002_factors_2_13_7_11_wgs_182_tpt_182_halfLds_dp_ip_CI_sbrr_dirReg
                                        ; -- End function
	.section	.AMDGPU.csdata,"",@progbits
; Kernel info:
; codeLenInByte = 14388
; NumSgprs: 46
; NumVgprs: 186
; ScratchSize: 0
; MemoryBound: 1
; FloatMode: 240
; IeeeMode: 1
; LDSByteSize: 0 bytes/workgroup (compile time only)
; SGPRBlocks: 5
; VGPRBlocks: 23
; NumSGPRsForWavesPerEU: 46
; NumVGPRsForWavesPerEU: 186
; Occupancy: 5
; WaveLimiterHint : 1
; COMPUTE_PGM_RSRC2:SCRATCH_EN: 0
; COMPUTE_PGM_RSRC2:USER_SGPR: 6
; COMPUTE_PGM_RSRC2:TRAP_HANDLER: 0
; COMPUTE_PGM_RSRC2:TGID_X_EN: 1
; COMPUTE_PGM_RSRC2:TGID_Y_EN: 0
; COMPUTE_PGM_RSRC2:TGID_Z_EN: 0
; COMPUTE_PGM_RSRC2:TIDIG_COMP_CNT: 0
	.text
	.p2alignl 6, 3214868480
	.fill 48, 4, 3214868480
	.type	__hip_cuid_7e6f469e60cb9777,@object ; @__hip_cuid_7e6f469e60cb9777
	.section	.bss,"aw",@nobits
	.globl	__hip_cuid_7e6f469e60cb9777
__hip_cuid_7e6f469e60cb9777:
	.byte	0                               ; 0x0
	.size	__hip_cuid_7e6f469e60cb9777, 1

	.ident	"AMD clang version 19.0.0git (https://github.com/RadeonOpenCompute/llvm-project roc-6.4.0 25133 c7fe45cf4b819c5991fe208aaa96edf142730f1d)"
	.section	".note.GNU-stack","",@progbits
	.addrsig
	.addrsig_sym __hip_cuid_7e6f469e60cb9777
	.amdgpu_metadata
---
amdhsa.kernels:
  - .args:
      - .actual_access:  read_only
        .address_space:  global
        .offset:         0
        .size:           8
        .value_kind:     global_buffer
      - .offset:         8
        .size:           8
        .value_kind:     by_value
      - .actual_access:  read_only
        .address_space:  global
        .offset:         16
        .size:           8
        .value_kind:     global_buffer
      - .actual_access:  read_only
        .address_space:  global
        .offset:         24
        .size:           8
        .value_kind:     global_buffer
      - .offset:         32
        .size:           8
        .value_kind:     by_value
      - .actual_access:  read_only
        .address_space:  global
        .offset:         40
        .size:           8
        .value_kind:     global_buffer
      - .actual_access:  read_only
        .address_space:  global
        .offset:         48
        .size:           8
        .value_kind:     global_buffer
      - .offset:         56
        .size:           4
        .value_kind:     by_value
      - .actual_access:  read_only
        .address_space:  global
        .offset:         64
        .size:           8
        .value_kind:     global_buffer
      - .actual_access:  read_only
        .address_space:  global
        .offset:         72
        .size:           8
        .value_kind:     global_buffer
      - .address_space:  global
        .offset:         80
        .size:           8
        .value_kind:     global_buffer
    .group_segment_fixed_size: 0
    .kernarg_segment_align: 8
    .kernarg_segment_size: 88
    .language:       OpenCL C
    .language_version:
      - 2
      - 0
    .max_flat_workgroup_size: 182
    .name:           fft_rtc_fwd_len2002_factors_2_13_7_11_wgs_182_tpt_182_halfLds_dp_ip_CI_sbrr_dirReg
    .private_segment_fixed_size: 0
    .sgpr_count:     46
    .sgpr_spill_count: 0
    .symbol:         fft_rtc_fwd_len2002_factors_2_13_7_11_wgs_182_tpt_182_halfLds_dp_ip_CI_sbrr_dirReg.kd
    .uniform_work_group_size: 1
    .uses_dynamic_stack: false
    .vgpr_count:     186
    .vgpr_spill_count: 0
    .wavefront_size: 32
    .workgroup_processor_mode: 1
amdhsa.target:   amdgcn-amd-amdhsa--gfx1030
amdhsa.version:
  - 1
  - 2
...

	.end_amdgpu_metadata
